;; amdgpu-corpus repo=ROCm/Tensile kind=harvested arch=n/a opt=n/a

/******************************************/
/* Function Prefix                        */
/******************************************/



/******************************************/
/* Begin Kernel                           */
/******************************************/

// Component.Signature.SignatureDefault
.amdgcn_target "amdgcn-amd-amdhsa--gfx942"
.text
.protected Cijk_Alik_Bljk_SB_MT256x256x32_MI32x32x2x1_SN_1LDSB1_APM1_AF0EM1_AF1EM1_AMAS3_ASE_ASGT_ASLT_ASM_ASAE01_ASCE01_ASEM1_BL1_BS1_CLR0_DTVA0_DTVB0_ETSP_EPS1_ELFLR0_EMLL0_FSSC10_FL0_GLVWA4_GLVWB4_GRCGA1_GRPM1_GRVW4_GSU1_GSUASB_GLS0_IU1_K1_LBSPPA0_LBSPPB0_LPA0_LPB0_LRVW1_LWPMn1_MIAV0_MKFGSU256_NTA0_NTB0_NTC0_NTD0_NEPBS0_NLCA1_NLCB1_ONLL1_PGR2_PLR17_PKA0_SIA3_SLW1_SS0_SU0_SUM0_SUS0_SPO1_SRVW0_SSO0_SVW4_TSGRA0_TSGRB0_TT4_128_TLDS0_UMLDSA0_UMLDSB0_USFGROn1_VAW1_VSn1_VW2_VWB1_VFLRP0_WSGRA0_WSGRB0_WG64_4_1_WGM36
.globl Cijk_Alik_Bljk_SB_MT256x256x32_MI32x32x2x1_SN_1LDSB1_APM1_AF0EM1_AF1EM1_AMAS3_ASE_ASGT_ASLT_ASM_ASAE01_ASCE01_ASEM1_BL1_BS1_CLR0_DTVA0_DTVB0_ETSP_EPS1_ELFLR0_EMLL0_FSSC10_FL0_GLVWA4_GLVWB4_GRCGA1_GRPM1_GRVW4_GSU1_GSUASB_GLS0_IU1_K1_LBSPPA0_LBSPPB0_LPA0_LPB0_LRVW1_LWPMn1_MIAV0_MKFGSU256_NTA0_NTB0_NTC0_NTD0_NEPBS0_NLCA1_NLCB1_ONLL1_PGR2_PLR17_PKA0_SIA3_SLW1_SS0_SU0_SUM0_SUS0_SPO1_SRVW0_SSO0_SVW4_TSGRA0_TSGRB0_TT4_128_TLDS0_UMLDSA0_UMLDSB0_USFGROn1_VAW1_VSn1_VW2_VWB1_VFLRP0_WSGRA0_WSGRB0_WG64_4_1_WGM36
.p2align 8
.type Cijk_Alik_Bljk_SB_MT256x256x32_MI32x32x2x1_SN_1LDSB1_APM1_AF0EM1_AF1EM1_AMAS3_ASE_ASGT_ASLT_ASM_ASAE01_ASCE01_ASEM1_BL1_BS1_CLR0_DTVA0_DTVB0_ETSP_EPS1_ELFLR0_EMLL0_FSSC10_FL0_GLVWA4_GLVWB4_GRCGA1_GRPM1_GRVW4_GSU1_GSUASB_GLS0_IU1_K1_LBSPPA0_LBSPPB0_LPA0_LPB0_LRVW1_LWPMn1_MIAV0_MKFGSU256_NTA0_NTB0_NTC0_NTD0_NEPBS0_NLCA1_NLCB1_ONLL1_PGR2_PLR17_PKA0_SIA3_SLW1_SS0_SU0_SUM0_SUS0_SPO1_SRVW0_SSO0_SVW4_TSGRA0_TSGRB0_TT4_128_TLDS0_UMLDSA0_UMLDSB0_USFGROn1_VAW1_VSn1_VW2_VWB1_VFLRP0_WSGRA0_WSGRB0_WG64_4_1_WGM36,@function
.section .rodata,#alloc
.p2align 6
.amdhsa_kernel Cijk_Alik_Bljk_SB_MT256x256x32_MI32x32x2x1_SN_1LDSB1_APM1_AF0EM1_AF1EM1_AMAS3_ASE_ASGT_ASLT_ASM_ASAE01_ASCE01_ASEM1_BL1_BS1_CLR0_DTVA0_DTVB0_ETSP_EPS1_ELFLR0_EMLL0_FSSC10_FL0_GLVWA4_GLVWB4_GRCGA1_GRPM1_GRVW4_GSU1_GSUASB_GLS0_IU1_K1_LBSPPA0_LBSPPB0_LPA0_LPB0_LRVW1_LWPMn1_MIAV0_MKFGSU256_NTA0_NTB0_NTC0_NTD0_NEPBS0_NLCA1_NLCB1_ONLL1_PGR2_PLR17_PKA0_SIA3_SLW1_SS0_SU0_SUM0_SUS0_SPO1_SRVW0_SSO0_SVW4_TSGRA0_TSGRB0_TT4_128_TLDS0_UMLDSA0_UMLDSB0_USFGROn1_VAW1_VSn1_VW2_VWB1_VFLRP0_WSGRA0_WSGRB0_WG64_4_1_WGM36
  .amdhsa_user_sgpr_kernarg_segment_ptr 1
  .amdhsa_user_sgpr_kernarg_preload_offset 0
  .amdhsa_user_sgpr_kernarg_preload_length 0
  .amdhsa_user_sgpr_count 2
  .amdhsa_accum_offset 256 // accvgpr offset
  .amdhsa_next_free_vgpr 512 // vgprs
  .amdhsa_next_free_sgpr 72 // sgprs
  .amdhsa_group_segment_fixed_size 65536 // lds bytes
  .amdhsa_private_segment_fixed_size 0
  .amdhsa_system_sgpr_workgroup_id_x 1
  .amdhsa_system_sgpr_workgroup_id_y 1
  .amdhsa_system_sgpr_workgroup_id_z 1
  .amdhsa_system_vgpr_workitem_id 0
  .amdhsa_float_denorm_mode_32 3
  .amdhsa_float_denorm_mode_16_64 3
.end_amdhsa_kernel
.text

/******************************************/
/* Optimizations and Config:              */
/******************************************/
/* ThreadTile= 64 x 4 */
/* SubGroup= 4 x 64 */
/* VectorWidthA=2 */
/* VectorWidthB=1 */
/* GlobalLoadVectorWidthA=4, GlobalLoadVectorWidthB=4 */
/* DirectToLdsA=False */
/* DirectToLdsB=False */
/* UseSgprForGRO=1 */
.amdgpu_metadata
---
amdhsa.version:
  - 1
  - 1
amdhsa.target: amdgcn-amd-amdhsa--gfx942
amdhsa.kernels:
  - .name: Cijk_Alik_Bljk_SB_MT256x256x32_MI32x32x2x1_SN_1LDSB1_APM1_AF0EM1_AF1EM1_AMAS3_ASE_ASGT_ASLT_ASM_ASAE01_ASCE01_ASEM1_BL1_BS1_CLR0_DTVA0_DTVB0_ETSP_EPS1_ELFLR0_EMLL0_FSSC10_FL0_GLVWA4_GLVWB4_GRCGA1_GRPM1_GRVW4_GSU1_GSUASB_GLS0_IU1_K1_LBSPPA0_LBSPPB0_LPA0_LPB0_LRVW1_LWPMn1_MIAV0_MKFGSU256_NTA0_NTB0_NTC0_NTD0_NEPBS0_NLCA1_NLCB1_ONLL1_PGR2_PLR17_PKA0_SIA3_SLW1_SS0_SU0_SUM0_SUS0_SPO1_SRVW0_SSO0_SVW4_TSGRA0_TSGRB0_TT4_128_TLDS0_UMLDSA0_UMLDSB0_USFGROn1_VAW1_VSn1_VW2_VWB1_VFLRP0_WSGRA0_WSGRB0_WG64_4_1_WGM36
    .symbol: 'Cijk_Alik_Bljk_SB_MT256x256x32_MI32x32x2x1_SN_1LDSB1_APM1_AF0EM1_AF1EM1_AMAS3_ASE_ASGT_ASLT_ASM_ASAE01_ASCE01_ASEM1_BL1_BS1_CLR0_DTVA0_DTVB0_ETSP_EPS1_ELFLR0_EMLL0_FSSC10_FL0_GLVWA4_GLVWB4_GRCGA1_GRPM1_GRVW4_GSU1_GSUASB_GLS0_IU1_K1_LBSPPA0_LBSPPB0_LPA0_LPB0_LRVW1_LWPMn1_MIAV0_MKFGSU256_NTA0_NTB0_NTC0_NTD0_NEPBS0_NLCA1_NLCB1_ONLL1_PGR2_PLR17_PKA0_SIA3_SLW1_SS0_SU0_SUM0_SUS0_SPO1_SRVW0_SSO0_SVW4_TSGRA0_TSGRB0_TT4_128_TLDS0_UMLDSA0_UMLDSB0_USFGROn1_VAW1_VSn1_VW2_VWB1_VFLRP0_WSGRA0_WSGRB0_WG64_4_1_WGM36.kd'
    .language:                   OpenCL C
    .language_version:
      - 2
      - 0
    .args:
      - .name:            Tensor2dSizeA
        .size:            8
        .offset:          0
        .value_kind:      by_value
        .value_type:      u64
      - .name:            Tensor2dSizeB
        .size:            8
        .offset:          8
        .value_kind:      by_value
        .value_type:      u64
      - .name:            AddressD
        .size:            8
        .offset:          16
        .value_kind:      by_value
        .value_type:      u64
      - .name:            AddressC
        .size:            8
        .offset:          24
        .value_kind:      by_value
        .value_type:      u64
      - .name:            AddressA
        .size:            8
        .offset:          32
        .value_kind:      by_value
        .value_type:      u64
      - .name:            AddressB
        .size:            8
        .offset:          40
        .value_kind:      by_value
        .value_type:      u64
      - .name:            Alpha
        .size:            4
        .offset:          48
        .value_kind:      by_value
        .value_type:      u32
      - .name:            Beta
        .size:            4
        .offset:          52
        .value_kind:      by_value
        .value_type:      u32
      - .name:            StridesD
        .size:            8
        .offset:          56
        .value_kind:      by_value
        .value_type:      u64
      - .name:            StridesC
        .size:            8
        .offset:          64
        .value_kind:      by_value
        .value_type:      u64
      - .name:            StridesA
        .size:            8
        .offset:          72
        .value_kind:      by_value
        .value_type:      u64
      - .name:            StridesB
        .size:            8
        .offset:          80
        .value_kind:      by_value
        .value_type:      u64
      - .name:            SizesFree
        .size:            12
        .offset:          88
        .value_kind:      by_value
        .value_type:      u96
      - .name:            SizesSum
        .size:            4
        .offset:          100
        .value_kind:      by_value
        .value_type:      u32
      - .name:            NumWorkGroups0
        .size:            4
        .offset:          104
        .value_kind:      by_value
        .value_type:      u32
      - .name:            NumWorkGroups1
        .size:            4
        .offset:          108
        .value_kind:      by_value
        .value_type:      u32
      - .name:            NumFullBlocks
        .size:            4
        .offset:          112
        .value_kind:      by_value
        .value_type:      u32
      - .name:            WgmRemainder1
        .size:            4
        .offset:          116
        .value_kind:      by_value
        .value_type:      u32
      - .name:            MagicNumberWgmRemainder1
        .size:            4
        .offset:          120
        .value_kind:      by_value
        .value_type:      u32
    .group_segment_fixed_size:   65536
    .kernarg_segment_align:      8
    .kernarg_segment_size:       128
    .max_flat_workgroup_size:    256
    .private_segment_fixed_size: 0
    .sgpr_count:                 72
    .sgpr_spill_count:           0
    .vgpr_count:                 256
    .vgpr_spill_count:           0
    .wavefront_size:             64
...
.end_amdgpu_metadata
Cijk_Alik_Bljk_SB_MT256x256x32_MI32x32x2x1_SN_1LDSB1_APM1_AF0EM1_AF1EM1_AMAS3_ASE_ASGT_ASLT_ASM_ASAE01_ASCE01_ASEM1_BL1_BS1_CLR0_DTVA0_DTVB0_ETSP_EPS1_ELFLR0_EMLL0_FSSC10_FL0_GLVWA4_GLVWB4_GRCGA1_GRPM1_GRVW4_GSU1_GSUASB_GLS0_IU1_K1_LBSPPA0_LBSPPB0_LPA0_LPB0_LRVW1_LWPMn1_MIAV0_MKFGSU256_NTA0_NTB0_NTC0_NTD0_NEPBS0_NLCA1_NLCB1_ONLL1_PGR2_PLR17_PKA0_SIA3_SLW1_SS0_SU0_SUM0_SUS0_SPO1_SRVW0_SSO0_SVW4_TSGRA0_TSGRB0_TT4_128_TLDS0_UMLDSA0_UMLDSB0_USFGROn1_VAW1_VSn1_VW2_VWB1_VFLRP0_WSGRA0_WSGRB0_WG64_4_1_WGM36:

/******************************************/
/* Asm syntax workarounds                 */
/******************************************/
.macro _v_add_co_u32 dst:req, cc:req, src0:req, src1:req, dpp=
   v_add_co_u32 \dst, \cc, \src0, \src1 \dpp
.endm

.macro _v_add_u32 dst:req, src0:req, src1:req, dpp=
   v_add_u32 \dst, \src0, \src1 \dpp
.endm

.macro _v_add_i32 dst:req, src0:req, src1:req, dpp=
   v_add_i32 \dst, \src0, \src1 \dpp
.endm

.macro _v_addc_co_u32 dst:req, ccOut:req, src0:req, ccIn:req, src1:req, dpp=
   v_addc_co_u32 \dst, \ccOut, \src0, \ccIn, \src1 \dpp
.endm

.macro _v_sub_co_u32 dst:req, cc:req, src0:req, src1:req, dpp=
   v_sub_co_u32 \dst, \cc, \src0, \src1 \dpp
.endm

.macro _v_sub_u32 dst:req, src0:req, src1:req, dpp=
   v_sub_u32 \dst, \src0, \src1 \dpp
.endm

.macro _v_sub_i32 dst:req, src0:req, src1:req, dpp=
   v_sub_i32 \dst, \src0, \src1 \dpp
.endm

.macro _v_add_lshl_u32 dst:req, src0:req, src1:req, shiftCnt:req
    v_add_lshl_u32 \dst, \src0, \src1, \shiftCnt
.endm

.macro _v_lshl_add_u32 dst:req, src0:req, src1:req, shiftCnt:req
    v_lshl_add_u32 \dst, \src0, \src1, \shiftCnt
.endm

.macro _v_lshl_or_b32 dst:req, src0:req, shiftCnt:req, src1:req
    v_lshl_or_b32 \dst, \src0, \shiftCnt, \src1
.endm

.macro _v_dot2acc_f32_f16 dst, src0, src1
v_dot2c_f32_f16 \dst, \src0, \src1
.endm

.macro _v_cmpx_lt_i16 dst, src0, src1=
   v_cmpx_lt_i16 \dst, \src0, \src1 
.endm

.macro _v_cmpx_lt_i32 dst, src0, src1=
   v_cmpx_lt_i32 \dst, \src0, \src1 
.endm

.macro _v_cmpx_lt_i64 dst, src0, src1=
   v_cmpx_lt_i64 \dst, \src0, \src1 
.endm

.macro _v_cmpx_lt_u16 dst, src0, src1=
   v_cmpx_lt_u16 \dst, \src0, \src1 
.endm

.macro _v_cmpx_lt_u32 dst, src0, src1=
   v_cmpx_lt_u32 \dst, \src0, \src1 
.endm

.macro _v_cmpx_lt_u64 dst, src0, src1=
   v_cmpx_lt_u64 \dst, \src0, \src1 
.endm

.macro _v_cmpx_eq_i16 dst, src0, src1=
   v_cmpx_eq_i16 \dst, \src0, \src1 
.endm

.macro _v_cmpx_eq_i32 dst, src0, src1=
   v_cmpx_eq_i32 \dst, \src0, \src1 
.endm

.macro _v_cmpx_eq_i64 dst, src0, src1=
   v_cmpx_eq_i64 \dst, \src0, \src1 
.endm

.macro _v_cmpx_eq_u16 dst, src0, src1=
   v_cmpx_eq_u16 \dst, \src0, \src1 
.endm

.macro _v_cmpx_eq_u32 dst, src0, src1=
   v_cmpx_eq_u32 \dst, \src0, \src1 
.endm

.macro _v_cmpx_eq_u64 dst, src0, src1=
   v_cmpx_eq_u64 \dst, \src0, \src1 
.endm

.macro _v_cmpx_le_i16 dst, src0, src1=
   v_cmpx_le_i16 \dst, \src0, \src1 
.endm

.macro _v_cmpx_le_i32 dst, src0, src1=
   v_cmpx_le_i32 \dst, \src0, \src1 
.endm

.macro _v_cmpx_le_i64 dst, src0, src1=
   v_cmpx_le_i64 \dst, \src0, \src1 
.endm

.macro _v_cmpx_le_u16 dst, src0, src1=
   v_cmpx_le_u16 \dst, \src0, \src1 
.endm

.macro _v_cmpx_le_u32 dst, src0, src1=
   v_cmpx_le_u32 \dst, \src0, \src1 
.endm

.macro _v_cmpx_le_u64 dst, src0, src1=
   v_cmpx_le_u64 \dst, \src0, \src1 
.endm

.macro _v_cmpx_gt_i16 dst, src0, src1=
   v_cmpx_gt_i16 \dst, \src0, \src1 
.endm

.macro _v_cmpx_gt_i32 dst, src0, src1=
   v_cmpx_gt_i32 \dst, \src0, \src1 
.endm

.macro _v_cmpx_gt_i64 dst, src0, src1=
   v_cmpx_gt_i64 \dst, \src0, \src1 
.endm

.macro _v_cmpx_gt_u16 dst, src0, src1=
   v_cmpx_gt_u16 \dst, \src0, \src1 
.endm

.macro _v_cmpx_gt_u32 dst, src0, src1=
   v_cmpx_gt_u32 \dst, \src0, \src1 
.endm

.macro _v_cmpx_gt_u64 dst, src0, src1=
   v_cmpx_gt_u64 \dst, \src0, \src1 
.endm

.macro _v_cmpx_ne_i16 dst, src0, src1=
   v_cmpx_ne_i16 \dst, \src0, \src1 
.endm

.macro _v_cmpx_ne_i32 dst, src0, src1=
   v_cmpx_ne_i32 \dst, \src0, \src1 
.endm

.macro _v_cmpx_ne_i64 dst, src0, src1=
   v_cmpx_ne_i64 \dst, \src0, \src1 
.endm

.macro _v_cmpx_ne_u16 dst, src0, src1=
   v_cmpx_ne_u16 \dst, \src0, \src1 
.endm

.macro _v_cmpx_ne_u32 dst, src0, src1=
   v_cmpx_ne_u32 \dst, \src0, \src1 
.endm

.macro _v_cmpx_ne_u64 dst, src0, src1=
   v_cmpx_ne_u64 \dst, \src0, \src1 
.endm

.macro _v_cmpx_lg_i16 dst, src0, src1=
   v_cmpx_lg_i16 \dst, \src0, \src1 
.endm

.macro _v_cmpx_lg_i32 dst, src0, src1=
   v_cmpx_lg_i32 \dst, \src0, \src1 
.endm

.macro _v_cmpx_lg_i64 dst, src0, src1=
   v_cmpx_lg_i64 \dst, \src0, \src1 
.endm

.macro _v_cmpx_lg_u16 dst, src0, src1=
   v_cmpx_lg_u16 \dst, \src0, \src1 
.endm

.macro _v_cmpx_lg_u32 dst, src0, src1=
   v_cmpx_lg_u32 \dst, \src0, \src1 
.endm

.macro _v_cmpx_lg_u64 dst, src0, src1=
   v_cmpx_lg_u64 \dst, \src0, \src1 
.endm

.macro _v_cmpx_ge_i16 dst, src0, src1=
   v_cmpx_ge_i16 \dst, \src0, \src1 
.endm

.macro _v_cmpx_ge_i32 dst, src0, src1=
   v_cmpx_ge_i32 \dst, \src0, \src1 
.endm

.macro _v_cmpx_ge_i64 dst, src0, src1=
   v_cmpx_ge_i64 \dst, \src0, \src1 
.endm

.macro _v_cmpx_ge_u16 dst, src0, src1=
   v_cmpx_ge_u16 \dst, \src0, \src1 
.endm

.macro _v_cmpx_ge_u32 dst, src0, src1=
   v_cmpx_ge_u32 \dst, \src0, \src1 
.endm

.macro _v_cmpx_ge_u64 dst, src0, src1=
   v_cmpx_ge_u64 \dst, \src0, \src1 
.endm

.macro _v_cmpx_o_i16 dst, src0, src1=
   v_cmpx_o_i16 \dst, \src0, \src1 
.endm

.macro _v_cmpx_o_i32 dst, src0, src1=
   v_cmpx_o_i32 \dst, \src0, \src1 
.endm

.macro _v_cmpx_o_i64 dst, src0, src1=
   v_cmpx_o_i64 \dst, \src0, \src1 
.endm

.macro _v_cmpx_o_u16 dst, src0, src1=
   v_cmpx_o_u16 \dst, \src0, \src1 
.endm

.macro _v_cmpx_o_u32 dst, src0, src1=
   v_cmpx_o_u32 \dst, \src0, \src1 
.endm

.macro _v_cmpx_o_u64 dst, src0, src1=
   v_cmpx_o_u64 \dst, \src0, \src1 
.endm

.macro _v_cmpx_u_i16 dst, src0, src1=
   v_cmpx_u_i16 \dst, \src0, \src1 
.endm

.macro _v_cmpx_u_i32 dst, src0, src1=
   v_cmpx_u_i32 \dst, \src0, \src1 
.endm

.macro _v_cmpx_u_i64 dst, src0, src1=
   v_cmpx_u_i64 \dst, \src0, \src1 
.endm

.macro _v_cmpx_u_u16 dst, src0, src1=
   v_cmpx_u_u16 \dst, \src0, \src1 
.endm

.macro _v_cmpx_u_u32 dst, src0, src1=
   v_cmpx_u_u32 \dst, \src0, \src1 
.endm

.macro _v_cmpx_u_u64 dst, src0, src1=
   v_cmpx_u_u64 \dst, \src0, \src1 
.endm
.macro _v_mac_f32 c:req, a:req, b:req
    v_fmac_f32 \c, \a, \b
.endmacro

/* scale global load macros */
.macro _s_load_b32 dst base offset
    s_load_dword \dst \base \offset
.endm

.macro _s_load_b64 dst base offset
    s_load_dwordx2 \dst \base \offset
.endm

.macro _s_load_b128 dst base offset
    s_load_dwordx4 \dst \base \offset
.endm

.macro _s_load_b256 dst base offset
    s_load_dwordx8 \dst \base \offset
.endm

.macro _s_load_b512 dst base offset
    s_load_dwordx16 \dst \base \offset
.endm


/* ds operation macros */
.macro _ds_load_u8 dst src offset
    ds_read_u8 \dst \src \offset
.endm

.macro _ds_load_u8_d16_hi dst src offset
    ds_read_u8_d16_hi \dst \src \offset
.endm

.macro _ds_load_u16 dst src offset
    ds_read_u16 \dst \src \offset
.endm

.macro _ds_load_u16_d16_hi dst src offset
    ds_read_u16_d16_hi \dst \src \offset
.endm

.macro _ds_load_b32 dst src offset
    ds_read_b32 \dst \src \offset
.endm

.macro _ds_load_b64 dst src offset
    ds_read_b64 \dst \src \offset
.endm

.macro _ds_load_b128 dst src offset
    ds_read_b128 \dst \src \offset
.endm

.macro _ds_store_b8 dst src offset
    ds_write_b8 \dst \src \offset
.endm

.macro _ds_store_b8_d16_hi dst src offset
    ds_write_b8_d16_hi \dst \src \offset
.endm

.macro _ds_store_b16 dst src offset
    ds_write_b16 \dst \src \offset
.endm

.macro _ds_store_b16_d16_hi dst src offset
    ds_write_b16_d16_hi \dst \src \offset
.endm

.macro _ds_store_b32 dst src offset
    ds_write_b32 \dst \src \offset
.endm

.macro _ds_store_b64 dst src offset
    ds_write_b64 \dst \src \offset
.endm

.macro _ds_store_b128 dst src offset
    ds_write_b128 \dst \src \offset
.endm

.macro _ds_load2_b32 dst src offset1 offset2
    ds_read2_b32 \dst \src \offset1 \offset2
.endm

.macro _ds_load2_b64 dst src offset1 offset2
    ds_read2_b64 \dst \src \offset1 \offset2
.endm

.macro _ds_store2_b32 dst src offset1 offset2
    ds_write2_b32 \dst \src \offset1 \offset2
.endm

.macro _ds_store2_b64 dst src offset1 offset2
    ds_write2_b64 \dst \src \offset1 \offset2
.endm


/* buffer memory operation macros */
.macro _buffer_load_b32 dst voffset base soffset offen ioffset md0 md1 md2
    buffer_load_dword \dst \voffset \base \soffset \offen \ioffset \md0 \md1 \md2
.endm

.macro _buffer_load_b64 dst voffset base soffset offen ioffset md0 md1 md2
    buffer_load_dwordx2 \dst \voffset \base \soffset \offen \ioffset \md0 \md1 \md2
.endm

.macro _buffer_load_b96 dst voffset base soffset offen ioffset md0 md1 md2
    buffer_load_dwordx3 \dst \voffset \base \soffset \offen \ioffset \md0 \md1 \md2
.endm

.macro _buffer_load_b128 dst voffset base soffset offen ioffset md0 md1 md2
    buffer_load_dwordx4 \dst \voffset \base \soffset \offen \ioffset \md0 \md1 \md2
.endm

.macro _buffer_load_d16_b16 dst voffset base soffset offen ioffset md0 md1 md2
    buffer_load_short_d16 \dst \voffset \base \soffset \offen \ioffset \md0 \md1 \md2
.endm

.macro _buffer_load_d16_hi_b16 dst voffset base soffset offen ioffset md0 md1 md2
    buffer_load_short_d16_hi \dst \voffset \base \soffset \offen \ioffset \md0 \md1 \md2
.endm

.macro _buffer_load_d16_u8 dst voffset base soffset offen ioffset md0 md1 md2
    buffer_load_ubyte_d16 \dst \voffset \base \soffset \offen \ioffset \md0 \md1 \md2
.endm

.macro _buffer_load_d16_hi_u8 dst voffset base soffset offen ioffset md0 md1 md2
    buffer_load_ubyte_d16_hi \dst \voffset \base \soffset \offen \ioffset \md0 \md1 \md2
.endm

.macro _buffer_load_u16 dst voffset base soffset offen ioffset md0 md1 md2
    buffer_load_ushort \dst \voffset \base \soffset \offen \ioffset \md0 \md1 \md2
.endm

.macro _buffer_load_b32_dtl voffset base soffset offen ioffset md0 md1 md2
    buffer_load_dword \voffset \base \soffset \offen \ioffset \md0 \md1 \md2
.endm

.macro _buffer_load_b64_dtl voffset base soffset offen ioffset md0 md1 md2
    buffer_load_dwordx2 \voffset \base \soffset \offen \ioffset \md0 \md1 \md2
.endm

.macro _buffer_load_b128_dtl voffset base soffset offen ioffset md0 md1 md2
    buffer_load_dwordx4 \voffset \base \soffset \offen \ioffset \md0 \md1 \md2
.endm

.macro _buffer_load_u16_dtl voffset base soffset offen ioffset md0 md1 md2
    buffer_load_ushort \voffset \base \soffset \offen \ioffset \md0 \md1 \md2
.endm

.macro _buffer_store_b32 src voffset base soffset offen ioffset md0 md1 md2
    buffer_store_dword \src \voffset \base \soffset \offen \ioffset \md0 \md1 \md2
.endm

.macro _buffer_store_b64 src voffset base soffset offen ioffset md0 md1 md2
    buffer_store_dwordx2 \src \voffset \base \soffset \offen \ioffset \md0 \md1 \md2
.endm

.macro _buffer_store_b96 src voffset base soffset offen ioffset md0 md1 md2
    buffer_store_dwordx3 \src \voffset \base \soffset \offen \ioffset \md0 \md1 \md2
.endm

.macro _buffer_store_b128 src voffset base soffset offen ioffset md0 md1 md2
    buffer_store_dwordx4 \src \voffset \base \soffset \offen \ioffset \md0 \md1 \md2
.endm

.macro _buffer_store_b16 src voffset base soffset offen ioffset md0 md1 md2
    buffer_store_short \src \voffset \base \soffset \offen \ioffset \md0 \md1 \md2
.endm

.macro _buffer_store_d16_hi_b16 src voffset base soffset offen ioffset md0 md1 md2
    buffer_store_short_d16_hi \src \voffset \base \soffset \offen \ioffset \md0 \md1 \md2
.endm

.macro _buffer_store_b8 src voffset base soffset offen ioffset md0 md1 md2
    buffer_store_byte \src \voffset \base \soffset \offen \ioffset \md0 \md1 \md2
.endm

.macro _buffer_store_d16_hi_b8 src voffset base soffset offen ioffset md0 md1 md2
    buffer_store_byte_d16_hi \src \voffset \base \soffset \offen \ioffset \md0 \md1 \md2
.endm

.macro _buffer_atomic_cmpswap_b32 dst voffset base soffset offen ioffset md0 md1 md2
    buffer_atomic_cmpswap \dst \voffset \base \soffset \offen \ioffset \md0 \md1 \md2
.endm

.macro _buffer_atomic_cmpswap_b64 dst voffset base soffset offen ioffset md0 md1 md2
    buffer_atomic_cmpswap_x2 \dst \voffset \base \soffset \offen \ioffset \md0 \md1 \md2
.endm


/* buffer memory operation macros */
.macro _global_load_b32 dst base src ioffset md0 md1 md2
    global_load_dword \dst \base \src \ioffset \md0 \md1 \md2
.endm

.macro _global_load_b64 dst base src ioffset md0 md1 md2
    global_load_dwordx2 \dst \base \src \ioffset \md0 \md1 \md2
.endm

.macro _global_load_b96 dst base src ioffset md0 md1 md2
    global_load_dwordx3 \dst \base \src \ioffset \md0 \md1 \md2
.endm

.macro _global_load_b128 dst base src ioffset md0 md1 md2
    global_load_dwordx4 \dst \base \src \ioffset \md0 \md1 \md2
.endm

.macro _global_load_d16_b16 dst base src ioffset md0 md1 md2
    global_load_short_d16 \dst \base \src \ioffset \md0 \md1 \md2
.endm

.macro _global_load_d16_hi_b16 dst base src ioffset md0 md1 md2
    global_load_short_d16_hi \dst \base \src \ioffset \md0 \md1 \md2
.endm

.macro _global_load_d16_u8 dst base src ioffset md0 md1 md2
    global_load_ubyte_d16 \dst \base \src \ioffset \md0 \md1 \md2
.endm

.macro _global_load_d16_hi_u8 dst base src ioffset md0 md1 md2
    global_load_ubyte_d16_hi \dst \base \src \ioffset \md0 \md1 \md2
.endm

.macro _global_load_u16 dst base src ioffset md0 md1 md2
    global_load_ushort \dst \base \src \ioffset \md0 \md1 \md2
.endm

.macro _global_store_b32 base src src2 md0 md1 md2
    global_store_dword \base \src \src2 \md0 \md1 \md2
.endm

.macro _global_store_b64 base src src2 md0 md1 md2
    global_store_dwordx2 \base \src \src2 \md0 \md1 \md2
.endm

.macro _global_store_b96 base src src2 md0 md1 md2
    global_store_dwordx3 \base \src \src2 \md0 \md1 \md2
.endm

.macro _global_store_b128 base src src2 md0 md1 md2
    global_store_dwordx4 \base \src \src2 \md0 \md1 \md2
.endm

.macro _global_store_d16_b16 base src src2 md0 md1 md2
    global_store_short \base \src \src2 \md0 \md1 \md2
.endm

.macro _global_store_d16_hi_b16 base src src2 md0 md1 md2
    global_store_short_d16_hi \base \src \src2 \md0 \md1 \md2
.endm

.macro _global_store_d16_u8 base src src2 md0 md1 md2
    global_store_ubyte_d16 \base \src \src2 \md0 \md1 \md2
.endm

.macro _global_store_d16_hi_u8 base src src2 md0 md1 md2
    global_store_ubyte_d16_hi \base \src \src2 \md0 \md1 \md2
.endm

.macro _global_store_u16 base src src2 md0 md1 md2
    global_store_ushort \base \src \src2 \md0 \md1 \md2
.endm

.macro _global_atomic_cmpswap_b32 tmp base data src ioffset md
    global_atomic_cmpswap \tmp \base \data \src \ioffset \md
.endm

.macro _global_atomic_cmpswap_b64 tmp base data src ioffset md
    global_atomic_cmpswap_x2 \tmp \base \data \src \ioffset \md
.endm


/******************************************/
/* Magic div and mod functions            */
/******************************************/
.macro V_MAGIC_DIV dstIdx:req, dividend:req, magicNumber:req, magicShift:req, magicA:req
    v_mul_hi_u32 v[\dstIdx+1], \dividend, \magicNumber
    v_mul_lo_u32 v[\dstIdx+0], \dividend, \magicA
    _v_add_u32 v[\dstIdx+0], v[\dstIdx+0], v[\dstIdx+1]
    v_lshrrev_b32 v[\dstIdx+0], \magicShift, v[\dstIdx+0]
.endm

/******************************************/
/* VGPR Assignments                       */
/******************************************/
/* ValuC range: [0-0), serializedStore enabled */
.set vgprValuC, 0
/* ValuA/B   Xn=PLR buffer idx,  In=InnerUnroll idx */
.set vgprValuA_X0_I0, 0
.set vgprValuA_X1_I0, 4
.set vgprValuA_X2_I0, 8
.set vgprValuA_X3_I0, 12
.set vgprValuA_X4_I0, 16
.set vgprValuA_X5_I0, 20
.set vgprValuA_X6_I0, 24
.set vgprValuA_X7_I0, 28
.set vgprValuA_X8_I0, 32
.set vgprValuA_X9_I0, 36
.set vgprValuA_X10_I0, 40
.set vgprValuA_X11_I0, 44
.set vgprValuA_X12_I0, 48
.set vgprValuA_X13_I0, 52
.set vgprValuA_X14_I0, 56
.set vgprValuA_X15_I0, 60
.set vgprG2LA, 132
.set vgprValuB_X0_I0, 64
.set vgprValuB_X1_I0, 68
.set vgprValuB_X2_I0, 72
.set vgprValuB_X3_I0, 76
.set vgprValuB_X4_I0, 80
.set vgprValuB_X5_I0, 84
.set vgprValuB_X6_I0, 88
.set vgprValuB_X7_I0, 92
.set vgprValuB_X8_I0, 96
.set vgprValuB_X9_I0, 100
.set vgprValuB_X10_I0, 104
.set vgprValuB_X11_I0, 108
.set vgprValuB_X12_I0, 112
.set vgprValuB_X13_I0, 116
.set vgprValuB_X14_I0, 120
.set vgprValuB_X15_I0, 124
.set vgprG2LB, 164
.set vgprLocalWriteAddrA, 128
.set vgprLocalWriteAddrB, 129
.set vgprGlobalReadOffsetA, 130
.set vgprGlobalReadOffsetB, 131
.set vgprLocalReadAddrA, 196
.set vgprLocalReadAddrB, 197
.set vgprSerial, 198
/* Num VGPR=256 */
/* Num AccVGPR=256 */

/******************************************/
/* SGPR Assignments                       */
/******************************************/
.set sgprKernArgAddress, 0 // (2)
.set sgprWorkGroup0, 2 // (1)
.set sgprWorkGroup1, 3 // (1)
.set sgprWorkGroup2, 4 // (1)
.set sgprLoopCounterL, 5 // (1)
.set sgprOrigLoopCounter, 6 // (1)
.set sgprSrdA, 8 // (4)
.set sgprSrdB, 12 // (4)
.set sgprSrdD, 16 // (4)
.set sgprSrdC, 20 // (4)
.set sgprTensor2dSizeA, 24 // (2)
.set sgprTensor2dSizeB, 26 // (2)
.set sgprAddressD, 28 // (2)
.set sgprAddressC, 30 // (2)
.set sgprAddressA, 32 // (2)
.set sgprAddressB, 34 // (2)
.set sgprAlpha, 36 // (1)
.set sgprBeta, 37 // (1)
.set sgprStridesD, 38 // (2)
.set sgprStridesC, 40 // (2)
.set sgprStridesA, 42 // (2)
.set sgprStridesB, 44 // (2)
.set sgprSizesFree, 46 // (3)
.set sgprSizesSum, 49 // (1)
.set sgprNumWorkGroups0, 50 // (1)
.set sgprNumWorkGroups1, 51 // (1)
.set sgprNumFullBlocks, 52 // (1)
.set sgprWgmRemainder1, 53 // (1)
.set sgprMagicNumberWgmRemainder1, 54 // (1)
.set sgprShadowLimitA, 0 // (2)
.set sgprShadowLimitB, 28 // (2)
.set sgprGlobalReadIncsA, 7 // (1)
.set sgprGlobalReadIncsB, 30 // (1)
.set sgprScalarGlobalReadOffsetA, 58 // (7)
.set sgprScalarGlobalReadOffsetB, 65 // (7)
/* max SGPR=72 */

/* Size Assignments */
.set sgprSizeI, sgprSizesFree+0
.set sgprSizeJ, sgprSizesFree+1
.set sgprSizeK, sgprSizesFree+2
.set sgprSizeL, sgprSizesSum+0

/* Stride Assignments */
.set constStrideD0I, 1
.set sgprStrideD1J, sgprStridesD+0
.set sgprStrideDK, sgprStridesD+1
.set constStrideC0I, 1
.set sgprStrideC1J, sgprStridesC+0
.set sgprStrideCK, sgprStridesC+1
.set constStrideAL, 1
.set sgprStrideA0I, sgprStridesA+0
.set sgprStrideAK, sgprStridesA+1
.set constStrideBL, 1
.set sgprStrideB1J, sgprStridesB+0
.set sgprStrideBK, sgprStridesB+1

.set MT0, 256
.set MT1, 256
.set DepthU, 32
.set GSU, 1
.set BpeA, 4
.set BpeALog2, 2
.set BpeB, 4
.set BpeBLog2, 2
/* Number of elements to shift-left SRD */
.set SrdShiftLeftA, 4
.set SrdShiftLeftB, 4
/* 2GB limit - set offsets to -1 to exceed this and clamp */
.set BufferLimitA, 0xffffffff
.set BufferLimitB, 0xffffffff
.set BufferOOB, 0xfffff000

/******************************************/
/* Bits 127:96 of SRD.                    */
/* hex: 0x00020000                        */
/* dst_sel_x (3b): 0                      */
/* dst_sel_y (3b): 0                      */
/* dst_sel_z (3b): 0                      */
/* dst_sel_w (3b): 0                      */
/* num_format (3b): 0                     */
/* data_format (4b): 4                    */
/* user_vm_enable (1b): 0                 */
/* user_vm_mode (1b): 0                   */
/* index_stride (2b): 0                   */
/* add_tid_enable (1b): 0                 */
/* _unusedA (3b): 0                       */
/* nv (1b): 0                             */
/* _unusedB (2b): 0                       */
/* type (2b): 0                           */
/******************************************/
.set Srd127_96, 0x00020000

/* Global Offset A */
.macro GLOBAL_OFFSET_A vgprAddr:req vgprOffsetL:req vgprOffset0I:req vgprTmp:req
v_mul_lo_u32 v[\vgprTmp+0], s[sgprStrideA0I], v[\vgprOffset0I] // mul d1 lower
_v_add_co_u32 v[\vgprAddr+0], vcc, v[\vgprOffsetL], v[\vgprTmp+0] // accumulate K lower
_v_add_u32 v[\vgprAddr+0], 0x4, v[\vgprAddr+0]     // add prepad for pointer shift
v_lshlrev_b32 v[\vgprAddr+0], 0x2, v[\vgprAddr+0]  // offset *= bytes/element
.endm

/* Global Offset B */
.macro GLOBAL_OFFSET_B vgprAddr:req vgprOffsetL:req vgprOffset1J:req vgprTmp:req
v_mul_lo_u32 v[\vgprTmp+0], s[sgprStrideB1J], v[\vgprOffset1J] // mul d1 lower
_v_add_co_u32 v[\vgprAddr+0], vcc, v[\vgprOffsetL], v[\vgprTmp+0] // accumulate K lower
_v_add_u32 v[\vgprAddr+0], 0x4, v[\vgprAddr+0]     // add prepad for pointer shift
v_lshlrev_b32 v[\vgprAddr+0], 0x2, v[\vgprAddr+0]  // offset *= bytes/element
.endm

/******************************************/
/* Dynamic Scalar Divide: vQuotient=vDividend/vDivisor; vRemainder=vDividend%vDivisor; */
/******************************************/
.macro DYNAMIC_VECTOR_DIVIDE vQuotient vRemainder vDividend vDivisor vTmp0 vTmp1 sTmp
v_cvt_f32_u32 v[\vQuotient], v[\vDivisor]          // 
v_rcp_f32 v[\vQuotient], v[\vQuotient]             // 
v_mul_f32 v[\vQuotient], 0x4f800000, v[\vQuotient] // 
v_cvt_u32_f32 v[\vQuotient], v[\vQuotient]         // 
v_mul_lo_u32 v[\vRemainder], v[\vDivisor], v[\vQuotient] // 
v_mul_hi_u32 v[\vTmp0], v[\vDivisor], v[\vQuotient] // 
_v_sub_co_u32 v[\vTmp1], vcc, 0x0, v[\vRemainder]  // 
v_cmp_ne_i32 s[\sTmp:\sTmp+1], 0x0, v[\vTmp0]      // 
v_cndmask_b32 v[\vRemainder], v[\vTmp1], v[\vRemainder], s[\sTmp:\sTmp+1] // 
v_mul_hi_u32 v[\vRemainder], v[\vRemainder], v[\vQuotient] // 
_v_sub_co_u32 v[\vTmp0], vcc, v[\vQuotient], v[\vRemainder] // 
_v_add_co_u32 v[\vQuotient], vcc, v[\vQuotient], v[\vRemainder] // 
v_cndmask_b32 v[\vQuotient], v[\vQuotient], v[\vTmp0], s[\sTmp:\sTmp+1] // 
v_mul_hi_u32 v[\vQuotient], v[\vQuotient], v[\vDividend] // 
v_mul_lo_u32 v[\vRemainder], v[\vQuotient], v[\vDivisor] // 
_v_sub_co_u32 v[\vTmp0], vcc, v[\vDividend], v[\vRemainder] // 
v_cmp_ge_u32 s[\sTmp:\sTmp+1], v[\vDividend], v[\vRemainder] // 
_v_add_co_u32 v[\vRemainder], vcc, 0x1, v[\vQuotient] // 
_v_add_co_u32 v[\vTmp1], vcc, -1, v[\vQuotient]    // 
v_cmp_le_u32 vcc, v[\vDivisor], v[\vTmp0]          // 
s_and_b64 vcc, s[\sTmp:\sTmp+1], vcc               // 
v_cndmask_b32 v[\vQuotient], v[\vQuotient], v[\vRemainder], vcc // 
v_cndmask_b32 v[\vQuotient], v[\vTmp1], v[\vQuotient], s[\sTmp:\sTmp+1] // 
v_cmp_ne_i32 vcc, 0x0, v[\vDivisor]                // 
v_cndmask_b32 v[\vQuotient], -1, v[\vQuotient], vcc // final result
v_mul_lo_u32 v[\vRemainder], v[\vQuotient], v[\vDivisor] // 
_v_sub_co_u32 v[\vRemainder], vcc, v[\vDividend], v[\vRemainder] // final result
.endm


	;; [unrolled: 1-line block ×3, first 2 shown]
/******************************************/
/* Allocate Resources                     */
/******************************************/

Cijk_Alik_Bljk_SB_MT256x256x32_MI32x32x2x1_SN_1LDSB1_APM1_AF0EM1_AF1EM1_AMAS3_ASE_ASGT_ASLT_ASM_ASAE01_ASCE01_ASEM1_BL1_BS1_CLR0_DTVA0_DTVB0_ETSP_EPS1_ELFLR0_EMLL0_FSSC10_FL0_GLVWA4_GLVWB4_GRCGA1_GRPM1_GRVW4_GSU1_GSUASB_GLS0_IU1_K1_LBSPPA0_LBSPPB0_LPA0_LPB0_LRVW1_LWPMn1_MIAV0_MKFGSU256_NTA0_NTB0_NTC0_NTD0_NEPBS0_NLCA1_NLCB1_ONLL1_PGR2_PLR17_PKA0_SIA3_SLW1_SS0_SU0_SUM0_SUS0_SPO1_SRVW0_SSO0_SVW4_TSGRA0_TSGRB0_TT4_128_TLDS0_UMLDSA0_UMLDSB0_USFGROn1_VAW1_VSn1_VW2_VWB1_VFLRP0_WSGRA0_WSGRB0_WG64_4_1_WGM36_preloaded: // Kernel start when preloading
s_setprio 3                                        // optimization store

/* Load Kernel Args */
_s_load_b512 s[24:39], s[sgprKernArgAddress:sgprKernArgAddress+1], 0x0 // 
_s_load_b256 s[40:47], s[sgprKernArgAddress:sgprKernArgAddress+1], 0x40 // 
_s_load_b128 s[48:51], s[sgprKernArgAddress:sgprKernArgAddress+1], 0x60 // 
_s_load_b64 s[52:53], s[sgprKernArgAddress:sgprKernArgAddress+1], 0x70 // 
_s_load_b32 s54, s[sgprKernArgAddress:sgprKernArgAddress+1], 0x78 // 
s_mov_b32 m0, 0x10000                              // LDS clamp at 65536 bytes
v_mov_b32 v[vgprSerial], v0                        // thread serial id

/******************************************/
/* Local Read Addresses                   */
/******************************************/


/* local read addresses: tile assignments a/b */

/*lr0I*/
v_and_b32 v1, 63, v[vgprSerial]                    // 0. thread id in wave: wtid = tid % wavelength(64)
v_and_b32 v0, 31, v1                               // 1. N offset: nIdx = wtid % MI_N(32)
                                                   // 1. N offset: nOffset = nIdx * nStride(1) (multiplier is 1, do nothing)
                                                   // 2. block offset: bnIdx = bnIdx % num1DBlocks(1) is 0. do nothing
v_lshlrev_b32 v0, 0x1, v0                          // 4. apply VectorWidth: bnOffset = bnOffset * vw(2)
v_lshrrev_b32 v1, 5, v1                            // 5. K offset: kIdx = wtid / (MIN(32) * MIBB(1))
v_lshlrev_b32 v1, 0x8, v1                          // 5. K offset: lrKOffset = kIdx * mStride(256)
_v_add_u32 v0, v1, v0                              // 6. offset in wave: lrOffset = bnOffset + lrKOffset
v_lshrrev_b32 v2, 6, v[vgprSerial]                 // 7. wave offset in N dimen: wtid = tid / dividedForWaveId(64)
v_and_b32 v1, 1, v2                                // 7. wave offset in M dimen: wtid0 = wtid / num1DWaves(2)
v_lshlrev_b32 v1, 0x6, v1                          // 7. wave offset in M dimen: wOffset = wtid0 * W0Stride(64)
_v_add_u32 v0, v1, v0                              // 8. final local read offset: flrOffset = lrOffset + WOffset
/*lr1J*/
v_and_b32 v2, 63, v[vgprSerial]                    // 0. thread id in wave: wtid = tid % wavelength(64)
v_and_b32 v1, 31, v2                               // 1. N offset: nIdx = wtid % MI_N(32)
                                                   // 1. N offset: nOffset = nIdx * nStride(1) (multiplier is 1, do nothing)
                                                   // 2. block offset: bnIdx = bnIdx % num1DBlocks(1) is 0. do nothing
                                                   // 4. apply VectorWidth: bnOffset = bnOffset * vw(1) (multiplier is 1, do nothing)
v_lshrrev_b32 v2, 5, v2                            // 5. K offset: kIdx = wtid / (MIN(32) * MIBB(1))
v_lshlrev_b32 v2, 0x8, v2                          // 5. K offset: lrKOffset = kIdx * mStride(256)
_v_add_u32 v1, v2, v1                              // 6. offset in wave: lrOffset = bnOffset + lrKOffset
v_lshrrev_b32 v3, 7, v[vgprSerial]                 // 7. wave offset in N dimen: wtid = tid / dividedForWaveId(128)
v_and_b32 v2, 1, v3                                // 7. wave offset in M dimen: wtid0 = wtid / num1DWaves(2)
v_lshlrev_b32 v2, 0x5, v2                          // 7. wave offset in M dimen: wOffset = wtid0 * W0Stride(32)
_v_add_u32 v1, v2, v1                              // 8. final local read offset: flrOffset = lrOffset + WOffset


/* local read addresses: final offsets a */

v_lshlrev_b32 v[vgprLocalReadAddrA], 0x2, v0       // Final Offset: offset = (lro0)*bpe


/* local read addresses: final offsets b */

v_lshlrev_b32 v[vgprLocalReadAddrB], 0x2, v1       // Final Offset: offset = (lro1)*bpe


/* local read addresses: declare addresses a */

/* N/A */


/* local read addresses: declare addresses b */

_v_add_co_u32 v[vgprLocalReadAddrB+0], vcc, 0x8000, v[vgprLocalReadAddrB+0] //  += LdsOffsetB (lower)


/* global read addresses: tile offset assignment a */

/* LVCA = 8 */
/* v0 = (local)groA-tile = serial/LVCA (note (wgA*MTA) will be added to SRD) */
/* v1 = groA-unroll = serial%LVCA */
v_lshrrev_b32 v0, 3, v[vgprSerial]                 // v0 = v[vgprSerial] / 8
v_and_b32 v1, 7, v[vgprSerial]                     // v1 = v[vgprSerial] % 8
/* gro-unroll *= glvw */
v_lshlrev_b32 v1, 0x2, v1                          // v1 = v1 * 4


/* global read addresses: tile offset assignment b */

/* LVCB = 8 */
/* v2 = (local)groB-tile = serial/LVCB (note (wgB*MTB) will be added to SRD) */
/* v3 = groB-unroll = serial%LVCB */
v_lshrrev_b32 v2, 3, v[vgprSerial]                 // v2 = v[vgprSerial] / 8
v_and_b32 v3, 7, v[vgprSerial]                     // v3 = v[vgprSerial] % 8
/* gro-unroll *= glvw */
v_lshlrev_b32 v3, 0x2, v3                          // v3 = v3 * 4


/******************************************/
/* Local Write Addresses                  */
/******************************************/

/* lwaTileAssignmentA = v0 */

/* lwaTileAssignmentB = v2 */

/* lwaUnrollAssignmentA = v1 */

/* lwaUnrollAssignmentB = v3 */


/* local write addresses: first offset a */

v_mul_u32_u24 v[vgprLocalWriteAddrA], 0x100, v1    // lwAL**(MTA + PAD)
_v_add_lshl_u32 v[vgprLocalWriteAddrA], v0, v[vgprLocalWriteAddrA], 0x2 // lwFOA = (lwAA + lwAL*(MT0I+PAD))*bpe


/* local write addresses: first offset b */

v_mul_u32_u24 v[vgprLocalWriteAddrB], 0x100, v3    // lwBL**(MTB + PAD)
_v_add_lshl_u32 v[vgprLocalWriteAddrB], v2, v[vgprLocalWriteAddrB], 0x2 // lwFOB = (lwBB + lwBL*(MT1J+PAD))*bpe
_v_add_co_u32 v[vgprLocalWriteAddrB], vcc, 0x8000, v[vgprLocalWriteAddrB] // lwFOB = lwB1J + lwBL*MT1J + LDS_OFFSET_B=8192*4


	;; [unrolled: 1-line block ×7, first 2 shown]
s_waitcnt lgkmcnt(0)                               // wait for 124 bytes of kern args
s_mov_b64 s[sgprSrdC+0:sgprSrdC+0+1], s[sgprAddressC+0:sgprAddressC+0+1] // copy addressC
s_mov_b64 s[sgprSrdD+0:sgprSrdD+0+1], s[sgprAddressD+0:sgprAddressD+0+1] // copy addressD
s_sub_u32 s[sgprSrdA+0], s[sgprAddressA+0], 16     // pre-pad to make room for possible pointer shift
s_subb_u32 s[sgprSrdA+1], s[sgprAddressA+1], 0     // pre-pad to make room for possible pointer shift
s_sub_u32 s[sgprSrdB+0], s[sgprAddressB+0], 16     // pre-pad to make room for possible pointer shift
s_subb_u32 s[sgprSrdB+1], s[sgprAddressB+1], 0     // pre-pad to make room for possible pointer shift

.set AddressD, UNDEF
.set AddressC, UNDEF
.set AddressA, UNDEF
.set AddressB, UNDEF

/* Short circuit condition if Alpha == 0, then sumDims=0 */
v_cmp_eq_f32 vcc, s[sgprAlpha], 0.0                // Alpha == 0.0f ?
s_cbranch_vccz label_AlphaNonZero                  // branch if alpha != 0
s_mov_b32 s[sgprSizesSum+0], 0x0                   // Set summation dim=0 if Alpha == 0
label_AlphaNonZero:


	;; [unrolled: 1-line block ×3, first 2 shown]
/******************************************/
/* Begin setupNewTile, isPap=False           */
/******************************************/


/* global read addresses: work-group */

/* graWorkGroup mapping */
s_mov_b32 s35, 0x38e38e4L                          // magic number for WGM==36
s_mul_hi_u32 s33, s[sgprWorkGroup1], s35           // s_magic mul
s_mul_i32 s32, s[sgprWorkGroup1], s35              // s_magic mul
s_lshr_b64 s[32:33], s[32:33], 31                  // sMagicDiv
s_mul_i32 s33, s32, 36                             // quotient * non-magic divisor
s_sub_u32 s33, s[sgprWorkGroup1], s33              // WorkGroup1=remainder
s_mul_i32 s33, s33, s[sgprNumWorkGroups0]          // (wg1 % WGM)*nwg0
s_add_u32 s33, s33, s[sgprWorkGroup0]              // wgSerial = wg0 + (wg1 % WGM)*nwg1
s_cmp_ge_u32 s32, s[sgprNumFullBlocks]             // blockId >= numFullBlocks ?
s_cmov_b32 s35, s[sgprMagicNumberWgmRemainder1]    // 
s_cselect_b32 s34, s[sgprWgmRemainder1], 36        // 
s_mul_hi_u32 s3, s33, s35                          // s_magic mul
s_mul_i32 s2, s33, s35                             // s_magic mul
s_lshr_b64 s[2:3], s[2:3], 31                      // sMagicDiv
s_mul_i32 s[sgprWorkGroup1], s[sgprWorkGroup0], s34 // quotient * non-magic divisor
s_sub_u32 s[sgprWorkGroup1], s33, s[sgprWorkGroup1] // WorkGroup1=remainder
s_mul_i32 s32, s32, 36                             // blockId * WGM
s_add_u32 s[sgprWorkGroup1], s[sgprWorkGroup1], s32 // wg1 += blockId * WGM


/* global read addresses: unroll assignment a */

/* v1 */


/* global read addresses: unroll assignment b */

/* v3 */


/* global read addresses: other free assignments */

/* s[sgprWorkGroup2] */


/* global read addresses: tile offsets a */


	;; [unrolled: 1-line block ×3, first 2 shown]
/* global read addresses: tile offsets b */


	;; [unrolled: 1-line block ×3, first 2 shown]
/* global read addresses: unroll offsets a */


	;; [unrolled: 1-line block ×3, first 2 shown]
/* global read addresses: unroll offsets b */


	;; [unrolled: 1-line block ×3, first 2 shown]
/* global read addresses: final offsets a */

GLOBAL_OFFSET_A vgprGlobalReadOffsetA+0,  1,  0, 4 // gROA_0_0_0_0
s_mul_i32 s[sgprScalarGlobalReadOffsetA+0], s[sgprStrideA0I], 32 // compute offset diff (scaled tileDim)
s_lshl_b32 s[sgprScalarGlobalReadOffsetA+0], s[sgprScalarGlobalReadOffsetA+0], 0x2 // scalar offset *= bytes/element
s_mul_i32 s[sgprScalarGlobalReadOffsetA+1], s[sgprStrideA0I], 64 // compute offset diff (scaled tileDim)
s_lshl_b32 s[sgprScalarGlobalReadOffsetA+1], s[sgprScalarGlobalReadOffsetA+1], 0x2 // scalar offset *= bytes/element
	;; [unrolled: 2-line block ×7, first 2 shown]


/* global read addresses: final offsets b */

GLOBAL_OFFSET_B vgprGlobalReadOffsetB+0,  3,  2, 4 // gROB_0_0_0_0
s_mul_i32 s[sgprScalarGlobalReadOffsetB+0], s[sgprStrideB1J], 32 // compute offset diff (scaled tileDim)
s_lshl_b32 s[sgprScalarGlobalReadOffsetB+0], s[sgprScalarGlobalReadOffsetB+0], 0x2 // scalar offset *= bytes/element
s_mul_i32 s[sgprScalarGlobalReadOffsetB+1], s[sgprStrideB1J], 64 // compute offset diff (scaled tileDim)
s_lshl_b32 s[sgprScalarGlobalReadOffsetB+1], s[sgprScalarGlobalReadOffsetB+1], 0x2 // scalar offset *= bytes/element
	;; [unrolled: 2-line block ×7, first 2 shown]


/* global read addresses: addresses a */

/* max read offset = size[n] * stride[n-1] */
s_mul_hi_u32 s35, s[sgprWorkGroup0], 256           // WorkGroup[01] * MT
s_mul_i32 s34, s[sgprWorkGroup0], 256              // WorkGroup[01] * MT
s_mul_hi_u32 s35, s34, s[sgprStrideA0I]            // tlu=0, scaled tile-offset by stride
s_mul_i32 s34, s34, s[sgprStrideA0I]               // tlu=0, scaled tile-offset by stride
s_sub_u32 s[sgprShadowLimitA+0], s[sgprTensor2dSizeA], s34 // sub tileStart
s_subb_u32 s[sgprShadowLimitA+1], s[sgprTensor2dSizeA+1], s35 // sub tileStart
s_lshl_b64 s[sgprShadowLimitA:sgprShadowLimitA+1], s[sgprShadowLimitA:sgprShadowLimitA+1], 0x2 // Set limit to use bytes
s_add_u32 s[sgprShadowLimitA+0], s[sgprShadowLimitA+0], 16 // extend limit for pre-pad
s_addc_u32 s[sgprShadowLimitA+1], s[sgprShadowLimitA+1], 0 // extend limit for pre-pad
s_cmp_eq_u32 s[sgprShadowLimitA+1], 0              // are we within 2^32?
s_cselect_b32 s[sgprSrdA+2], s[sgprShadowLimitA+0], BufferLimitA // Move shadow to real if we are within 2^32
s_mul_hi_u32 s33, s[sgprStrideAK], s[sgprWorkGroup2] // Stride*WG
s_mul_i32 s32, s[sgprStrideAK], s[sgprWorkGroup2]  // Stride*WG
s_add_u32 s34, s34, s32                            // accum wg term to tilestart
s_addc_u32 s35, s35, s33                           // accum wg term to tilestart
s_lshl_b64 s[34:35], s[34:35], 0x2                 // tileStart *= BPE
s_add_u32 s[sgprSrdA+0], s[sgprSrdA+0], s34        // SRD base = Address+ tileStart0
s_addc_u32 s[sgprSrdA+1], s[sgprSrdA+1], s35       // SRD base = Address+ tileStart1
s_mov_b32 s[sgprSrdA+3], Srd127_96                 // Set bits 127_96 in SRD


/* global read addresses: addresses b */

/* max read offset = size[n] * stride[n-1] */
s_mul_hi_u32 s35, s[sgprWorkGroup1], 256           // WorkGroup[01] * MT
s_mul_i32 s34, s[sgprWorkGroup1], 256              // WorkGroup[01] * MT
s_mul_hi_u32 s35, s34, s[sgprStrideB1J]            // tlu=0, scaled tile-offset by stride
s_mul_i32 s34, s34, s[sgprStrideB1J]               // tlu=0, scaled tile-offset by stride
s_sub_u32 s[sgprShadowLimitB+0], s[sgprTensor2dSizeB], s34 // sub tileStart
s_subb_u32 s[sgprShadowLimitB+1], s[sgprTensor2dSizeB+1], s35 // sub tileStart
s_lshl_b64 s[sgprShadowLimitB:sgprShadowLimitB+1], s[sgprShadowLimitB:sgprShadowLimitB+1], 0x2 // Set limit to use bytes
s_add_u32 s[sgprShadowLimitB+0], s[sgprShadowLimitB+0], 16 // extend limit for pre-pad
s_addc_u32 s[sgprShadowLimitB+1], s[sgprShadowLimitB+1], 0 // extend limit for pre-pad
s_cmp_eq_u32 s[sgprShadowLimitB+1], 0              // are we within 2^32?
s_cselect_b32 s[sgprSrdB+2], s[sgprShadowLimitB+0], BufferLimitB // Move shadow to real if we are within 2^32
s_mul_hi_u32 s33, s[sgprStrideBK], s[sgprWorkGroup2] // Stride*WG
s_mul_i32 s32, s[sgprStrideBK], s[sgprWorkGroup2]  // Stride*WG
s_add_u32 s34, s34, s32                            // accum wg term to tilestart
s_addc_u32 s35, s35, s33                           // accum wg term to tilestart
s_lshl_b64 s[34:35], s[34:35], 0x2                 // tileStart *= BPE
s_add_u32 s[sgprSrdB+0], s[sgprSrdB+0], s34        // SRD base = Address+ tileStart0
s_addc_u32 s[sgprSrdB+1], s[sgprSrdB+1], s35       // SRD base = Address+ tileStart1
s_mov_b32 s[sgprSrdB+3], Srd127_96                 // Set bits 127_96 in SRD


/* global read addresses: increments a */

s_mov_b32 s[sgprGlobalReadIncsA+0], DepthU*BpeA    // incrA (unrollIdx)


/* global read addresses: increments b */

s_mov_b32 s[sgprGlobalReadIncsB+0], DepthU*BpeB    // incrB (unrollIdx)

/* declare loop num iterations */


s_lshr_b32 s[sgprLoopCounterL], s[sgprSizesSum+0], 5 // s[sgprLoopCounterL] = s[sgprSizesSum+0] / 32
s_mov_b32 s[sgprOrigLoopCounter], s[sgprLoopCounterL] // copy loop counter

/* local read addresses: init pointers a */


/* localReadInitPointers */

/* local read addresses: init pointers b */


/* localReadInitPointers */


/* prefetch: global -> local */

s_cmp_eq_u32 s[sgprLoopCounterL], 0                // at last iteration?
s_setprio 0                                        // optimization store
s_cbranch_scc1 ShadowInitStart_10                  // skip to ShadowInitStart iter b/c numIter==0


_buffer_load_b128 v[vgprG2LA+0:vgprG2LA+0+3], v[vgprGlobalReadOffsetA+0], s[sgprSrdA:sgprSrdA+3], 0, offen offset:0 // G -> Reg 0_0_0_0
_buffer_load_b128 v[vgprG2LA+4:vgprG2LA+4+3], v[vgprGlobalReadOffsetA+0], s[sgprSrdA:sgprSrdA+3], s[sgprScalarGlobalReadOffsetA+0], offen offset:0 // G -> Reg 0_0_1_0
_buffer_load_b128 v[vgprG2LA+8:vgprG2LA+8+3], v[vgprGlobalReadOffsetA+0], s[sgprSrdA:sgprSrdA+3], s[sgprScalarGlobalReadOffsetA+1], offen offset:0 // G -> Reg 0_0_2_0
_buffer_load_b128 v[vgprG2LA+12:vgprG2LA+12+3], v[vgprGlobalReadOffsetA+0], s[sgprSrdA:sgprSrdA+3], s[sgprScalarGlobalReadOffsetA+2], offen offset:0 // G -> Reg 0_0_3_0
_buffer_load_b128 v[vgprG2LA+16:vgprG2LA+16+3], v[vgprGlobalReadOffsetA+0], s[sgprSrdA:sgprSrdA+3], s[sgprScalarGlobalReadOffsetA+3], offen offset:0 // G -> Reg 0_0_4_0
_buffer_load_b128 v[vgprG2LA+20:vgprG2LA+20+3], v[vgprGlobalReadOffsetA+0], s[sgprSrdA:sgprSrdA+3], s[sgprScalarGlobalReadOffsetA+4], offen offset:0 // G -> Reg 0_0_5_0
_buffer_load_b128 v[vgprG2LA+24:vgprG2LA+24+3], v[vgprGlobalReadOffsetA+0], s[sgprSrdA:sgprSrdA+3], s[sgprScalarGlobalReadOffsetA+5], offen offset:0 // G -> Reg 0_0_6_0
_buffer_load_b128 v[vgprG2LA+28:vgprG2LA+28+3], v[vgprGlobalReadOffsetA+0], s[sgprSrdA:sgprSrdA+3], s[sgprScalarGlobalReadOffsetA+6], offen offset:0 // G -> Reg 0_0_7_0


_buffer_load_b128 v[vgprG2LB+0:vgprG2LB+0+3], v[vgprGlobalReadOffsetB+0], s[sgprSrdB:sgprSrdB+3], 0, offen offset:0 // G -> Reg 0_0_0_0
_buffer_load_b128 v[vgprG2LB+4:vgprG2LB+4+3], v[vgprGlobalReadOffsetB+0], s[sgprSrdB:sgprSrdB+3], s[sgprScalarGlobalReadOffsetB+0], offen offset:0 // G -> Reg 0_0_1_0
_buffer_load_b128 v[vgprG2LB+8:vgprG2LB+8+3], v[vgprGlobalReadOffsetB+0], s[sgprSrdB:sgprSrdB+3], s[sgprScalarGlobalReadOffsetB+1], offen offset:0 // G -> Reg 0_0_2_0
_buffer_load_b128 v[vgprG2LB+12:vgprG2LB+12+3], v[vgprGlobalReadOffsetB+0], s[sgprSrdB:sgprSrdB+3], s[sgprScalarGlobalReadOffsetB+2], offen offset:0 // G -> Reg 0_0_3_0
_buffer_load_b128 v[vgprG2LB+16:vgprG2LB+16+3], v[vgprGlobalReadOffsetB+0], s[sgprSrdB:sgprSrdB+3], s[sgprScalarGlobalReadOffsetB+3], offen offset:0 // G -> Reg 0_0_4_0
_buffer_load_b128 v[vgprG2LB+20:vgprG2LB+20+3], v[vgprGlobalReadOffsetB+0], s[sgprSrdB:sgprSrdB+3], s[sgprScalarGlobalReadOffsetB+4], offen offset:0 // G -> Reg 0_0_5_0
_buffer_load_b128 v[vgprG2LB+24:vgprG2LB+24+3], v[vgprGlobalReadOffsetB+0], s[sgprSrdB:sgprSrdB+3], s[sgprScalarGlobalReadOffsetB+5], offen offset:0 // G -> Reg 0_0_6_0
_buffer_load_b128 v[vgprG2LB+28:vgprG2LB+28+3], v[vgprGlobalReadOffsetB+0], s[sgprSrdB:sgprSrdB+3], s[sgprScalarGlobalReadOffsetB+6], offen offset:0 // G -> Reg 0_0_7_0


/* global read inc A loopL */
s_add_u32 s[sgprSrdA+0], s[sgprSrdA+0], s[sgprGlobalReadIncsA+0] // gra SRD += inc(lower)
s_addc_u32  s[sgprSrdA+1], s[sgprSrdA+1], 0        // gra SRD += inc(upper)
s_sub_u32 s[sgprShadowLimitA+0], s[sgprShadowLimitA+0], s[sgprGlobalReadIncsA+0] // limit -= inc)
s_subb_u32 s[sgprShadowLimitA+1], s[sgprShadowLimitA+1], 0 // limit -= inc)
s_cmp_eq_u32 s[sgprShadowLimitA+1], 0              // are we within 2^32?
s_cmov_b32 s[sgprSrdA+2], s[sgprShadowLimitA+0]    // Move shadow to real if we are within 2^32

/* global read inc B loopL */
s_add_u32 s[sgprSrdB+0], s[sgprSrdB+0], s[sgprGlobalReadIncsB+0] // gra SRD += inc(lower)
s_addc_u32  s[sgprSrdB+1], s[sgprSrdB+1], 0        // gra SRD += inc(upper)
s_sub_u32 s[sgprShadowLimitB+0], s[sgprShadowLimitB+0], s[sgprGlobalReadIncsB+0] // limit -= inc)
s_subb_u32 s[sgprShadowLimitB+1], s[sgprShadowLimitB+1], 0 // limit -= inc)
s_cmp_eq_u32 s[sgprShadowLimitB+1], 0              // are we within 2^32?
s_cmov_b32 s[sgprSrdB+2], s[sgprShadowLimitB+0]    // Move shadow to real if we are within 2^32


/******************************************/
/* End setupNewTile, isPap=False             */
/******************************************/

ShadowInitStart_10: // 

s_mov_b32 s[sgprSrdD+2], BufferOOB                 // 
s_mov_b32 s[sgprSrdD+3], Srd127_96                 // Set bits 127_96 in post-loop SRD

s_mov_b32 s[sgprSrdC+2], BufferOOB                 // 
s_mov_b32 s[sgprSrdC+3], Srd127_96                 // Set bits 127_96 in post-loop SRD


s_mul_i32 s34, MT1, s[sgprWorkGroup1]              // <- wg1*MT1
s_mul_hi_u32 s33, s34, s[sgprStrideC1J]            // CScale s34 by Stride
s_mul_i32 s32, s34, s[sgprStrideC1J]               // CScale s34 by Stride
s_lshl_b64 s[32:33], s[32:33], 2                   // scale by bpe
s_add_u32 s[sgprSrdC+0], s[sgprSrdC+0], s32        // add lo to SRD
s_addc_u32 s[sgprSrdC+1], s[sgprSrdC+1], s33       // add hi to SRD
s_mul_hi_u32 s33, s34, s[sgprStrideD1J]            // Scale s34 by Stride
s_mul_i32 s32, s34, s[sgprStrideD1J]               // Scale s34 by Stride
s_lshl_b64 s[32:33], s[32:33], 2                   // scale by bpe
s_add_u32 s[sgprSrdD+0], s[sgprSrdD+0], s32        // add lo to SRD
s_addc_u32 s[sgprSrdD+1], s[sgprSrdD+1], s33       // add hi to SRD

s_mul_hi_u32 s33, s[sgprWorkGroup2], s[sgprStrideCK] // CScale s[sgprWorkGroup2] by Stride
s_mul_i32 s32, s[sgprWorkGroup2], s[sgprStrideCK]  // CScale s[sgprWorkGroup2] by Stride
s_lshl_b64 s[32:33], s[32:33], 2                   // scale by bpe
s_add_u32 s[sgprSrdC+0], s[sgprSrdC+0], s32        // add lo to SRD
s_addc_u32 s[sgprSrdC+1], s[sgprSrdC+1], s33       // add hi to SRD
s_mul_hi_u32 s33, s[sgprWorkGroup2], s[sgprStrideDK] // Scale s[sgprWorkGroup2] by Stride
s_mul_i32 s32, s[sgprWorkGroup2], s[sgprStrideDK]  // Scale s[sgprWorkGroup2] by Stride
s_lshl_b64 s[32:33], s[32:33], 2                   // scale by bpe
s_add_u32 s[sgprSrdD+0], s[sgprSrdD+0], s32        // add lo to SRD
s_addc_u32 s[sgprSrdD+1], s[sgprSrdD+1], s33       // add hi to SRD


	;; [unrolled: 1-line block ×3, first 2 shown]
/* initC: remove C-tile 0-0 from pool */

/* initC: remove AB-tile 0-128 from pool */
v_accvgpr_write acc0, 0x0                          // initC
v_accvgpr_write acc1, 0x0                          // initC
v_accvgpr_write acc2, 0x0                          // initC
v_accvgpr_write acc3, 0x0                          // initC
v_accvgpr_write acc4, 0x0                          // initC
v_accvgpr_write acc5, 0x0                          // initC
v_accvgpr_write acc6, 0x0                          // initC
v_accvgpr_write acc7, 0x0                          // initC
v_accvgpr_write acc8, 0x0                          // initC
v_accvgpr_write acc9, 0x0                          // initC
v_accvgpr_write acc10, 0x0                         // initC
v_accvgpr_write acc11, 0x0                         // initC
v_accvgpr_write acc12, 0x0                         // initC
v_accvgpr_write acc13, 0x0                         // initC
v_accvgpr_write acc14, 0x0                         // initC
v_accvgpr_write acc15, 0x0                         // initC
v_accvgpr_write acc16, 0x0                         // initC
v_accvgpr_write acc17, 0x0                         // initC
v_accvgpr_write acc18, 0x0                         // initC
v_accvgpr_write acc19, 0x0                         // initC
v_accvgpr_write acc20, 0x0                         // initC
v_accvgpr_write acc21, 0x0                         // initC
v_accvgpr_write acc22, 0x0                         // initC
v_accvgpr_write acc23, 0x0                         // initC
v_accvgpr_write acc24, 0x0                         // initC
v_accvgpr_write acc25, 0x0                         // initC
v_accvgpr_write acc26, 0x0                         // initC
v_accvgpr_write acc27, 0x0                         // initC
v_accvgpr_write acc28, 0x0                         // initC
v_accvgpr_write acc29, 0x0                         // initC
v_accvgpr_write acc30, 0x0                         // initC
v_accvgpr_write acc31, 0x0                         // initC
v_accvgpr_write acc32, 0x0                         // initC
v_accvgpr_write acc33, 0x0                         // initC
v_accvgpr_write acc34, 0x0                         // initC
v_accvgpr_write acc35, 0x0                         // initC
v_accvgpr_write acc36, 0x0                         // initC
v_accvgpr_write acc37, 0x0                         // initC
v_accvgpr_write acc38, 0x0                         // initC
v_accvgpr_write acc39, 0x0                         // initC
v_accvgpr_write acc40, 0x0                         // initC
v_accvgpr_write acc41, 0x0                         // initC
v_accvgpr_write acc42, 0x0                         // initC
v_accvgpr_write acc43, 0x0                         // initC
v_accvgpr_write acc44, 0x0                         // initC
v_accvgpr_write acc45, 0x0                         // initC
v_accvgpr_write acc46, 0x0                         // initC
v_accvgpr_write acc47, 0x0                         // initC
v_accvgpr_write acc48, 0x0                         // initC
v_accvgpr_write acc49, 0x0                         // initC
v_accvgpr_write acc50, 0x0                         // initC
v_accvgpr_write acc51, 0x0                         // initC
v_accvgpr_write acc52, 0x0                         // initC
v_accvgpr_write acc53, 0x0                         // initC
v_accvgpr_write acc54, 0x0                         // initC
v_accvgpr_write acc55, 0x0                         // initC
v_accvgpr_write acc56, 0x0                         // initC
v_accvgpr_write acc57, 0x0                         // initC
v_accvgpr_write acc58, 0x0                         // initC
v_accvgpr_write acc59, 0x0                         // initC
v_accvgpr_write acc60, 0x0                         // initC
v_accvgpr_write acc61, 0x0                         // initC
v_accvgpr_write acc62, 0x0                         // initC
v_accvgpr_write acc63, 0x0                         // initC
v_accvgpr_write acc64, 0x0                         // initC
v_accvgpr_write acc65, 0x0                         // initC
v_accvgpr_write acc66, 0x0                         // initC
v_accvgpr_write acc67, 0x0                         // initC
v_accvgpr_write acc68, 0x0                         // initC
v_accvgpr_write acc69, 0x0                         // initC
v_accvgpr_write acc70, 0x0                         // initC
v_accvgpr_write acc71, 0x0                         // initC
v_accvgpr_write acc72, 0x0                         // initC
v_accvgpr_write acc73, 0x0                         // initC
v_accvgpr_write acc74, 0x0                         // initC
v_accvgpr_write acc75, 0x0                         // initC
v_accvgpr_write acc76, 0x0                         // initC
v_accvgpr_write acc77, 0x0                         // initC
v_accvgpr_write acc78, 0x0                         // initC
v_accvgpr_write acc79, 0x0                         // initC
v_accvgpr_write acc80, 0x0                         // initC
v_accvgpr_write acc81, 0x0                         // initC
v_accvgpr_write acc82, 0x0                         // initC
v_accvgpr_write acc83, 0x0                         // initC
v_accvgpr_write acc84, 0x0                         // initC
v_accvgpr_write acc85, 0x0                         // initC
v_accvgpr_write acc86, 0x0                         // initC
v_accvgpr_write acc87, 0x0                         // initC
v_accvgpr_write acc88, 0x0                         // initC
v_accvgpr_write acc89, 0x0                         // initC
v_accvgpr_write acc90, 0x0                         // initC
v_accvgpr_write acc91, 0x0                         // initC
v_accvgpr_write acc92, 0x0                         // initC
v_accvgpr_write acc93, 0x0                         // initC
v_accvgpr_write acc94, 0x0                         // initC
v_accvgpr_write acc95, 0x0                         // initC
v_accvgpr_write acc96, 0x0                         // initC
v_accvgpr_write acc97, 0x0                         // initC
v_accvgpr_write acc98, 0x0                         // initC
v_accvgpr_write acc99, 0x0                         // initC
v_accvgpr_write acc100, 0x0                        // initC
v_accvgpr_write acc101, 0x0                        // initC
v_accvgpr_write acc102, 0x0                        // initC
v_accvgpr_write acc103, 0x0                        // initC
v_accvgpr_write acc104, 0x0                        // initC
v_accvgpr_write acc105, 0x0                        // initC
v_accvgpr_write acc106, 0x0                        // initC
v_accvgpr_write acc107, 0x0                        // initC
v_accvgpr_write acc108, 0x0                        // initC
v_accvgpr_write acc109, 0x0                        // initC
v_accvgpr_write acc110, 0x0                        // initC
v_accvgpr_write acc111, 0x0                        // initC
v_accvgpr_write acc112, 0x0                        // initC
v_accvgpr_write acc113, 0x0                        // initC
v_accvgpr_write acc114, 0x0                        // initC
v_accvgpr_write acc115, 0x0                        // initC
v_accvgpr_write acc116, 0x0                        // initC
v_accvgpr_write acc117, 0x0                        // initC
v_accvgpr_write acc118, 0x0                        // initC
v_accvgpr_write acc119, 0x0                        // initC
v_accvgpr_write acc120, 0x0                        // initC
v_accvgpr_write acc121, 0x0                        // initC
v_accvgpr_write acc122, 0x0                        // initC
v_accvgpr_write acc123, 0x0                        // initC
v_accvgpr_write acc124, 0x0                        // initC
v_accvgpr_write acc125, 0x0                        // initC
v_accvgpr_write acc126, 0x0                        // initC
v_accvgpr_write acc127, 0x0                        // initC
v_accvgpr_write acc128, 0x0                        // initC
v_accvgpr_write acc129, 0x0                        // initC
v_accvgpr_write acc130, 0x0                        // initC
v_accvgpr_write acc131, 0x0                        // initC
v_accvgpr_write acc132, 0x0                        // initC
v_accvgpr_write acc133, 0x0                        // initC
v_accvgpr_write acc134, 0x0                        // initC
v_accvgpr_write acc135, 0x0                        // initC
v_accvgpr_write acc136, 0x0                        // initC
v_accvgpr_write acc137, 0x0                        // initC
v_accvgpr_write acc138, 0x0                        // initC
v_accvgpr_write acc139, 0x0                        // initC
v_accvgpr_write acc140, 0x0                        // initC
v_accvgpr_write acc141, 0x0                        // initC
v_accvgpr_write acc142, 0x0                        // initC
v_accvgpr_write acc143, 0x0                        // initC
v_accvgpr_write acc144, 0x0                        // initC
v_accvgpr_write acc145, 0x0                        // initC
v_accvgpr_write acc146, 0x0                        // initC
v_accvgpr_write acc147, 0x0                        // initC
v_accvgpr_write acc148, 0x0                        // initC
v_accvgpr_write acc149, 0x0                        // initC
v_accvgpr_write acc150, 0x0                        // initC
v_accvgpr_write acc151, 0x0                        // initC
v_accvgpr_write acc152, 0x0                        // initC
v_accvgpr_write acc153, 0x0                        // initC
v_accvgpr_write acc154, 0x0                        // initC
v_accvgpr_write acc155, 0x0                        // initC
v_accvgpr_write acc156, 0x0                        // initC
v_accvgpr_write acc157, 0x0                        // initC
v_accvgpr_write acc158, 0x0                        // initC
v_accvgpr_write acc159, 0x0                        // initC
v_accvgpr_write acc160, 0x0                        // initC
v_accvgpr_write acc161, 0x0                        // initC
v_accvgpr_write acc162, 0x0                        // initC
v_accvgpr_write acc163, 0x0                        // initC
v_accvgpr_write acc164, 0x0                        // initC
v_accvgpr_write acc165, 0x0                        // initC
v_accvgpr_write acc166, 0x0                        // initC
v_accvgpr_write acc167, 0x0                        // initC
v_accvgpr_write acc168, 0x0                        // initC
v_accvgpr_write acc169, 0x0                        // initC
v_accvgpr_write acc170, 0x0                        // initC
v_accvgpr_write acc171, 0x0                        // initC
v_accvgpr_write acc172, 0x0                        // initC
v_accvgpr_write acc173, 0x0                        // initC
v_accvgpr_write acc174, 0x0                        // initC
v_accvgpr_write acc175, 0x0                        // initC
v_accvgpr_write acc176, 0x0                        // initC
v_accvgpr_write acc177, 0x0                        // initC
v_accvgpr_write acc178, 0x0                        // initC
v_accvgpr_write acc179, 0x0                        // initC
v_accvgpr_write acc180, 0x0                        // initC
v_accvgpr_write acc181, 0x0                        // initC
v_accvgpr_write acc182, 0x0                        // initC
v_accvgpr_write acc183, 0x0                        // initC
v_accvgpr_write acc184, 0x0                        // initC
v_accvgpr_write acc185, 0x0                        // initC
v_accvgpr_write acc186, 0x0                        // initC
v_accvgpr_write acc187, 0x0                        // initC
v_accvgpr_write acc188, 0x0                        // initC
v_accvgpr_write acc189, 0x0                        // initC
v_accvgpr_write acc190, 0x0                        // initC
v_accvgpr_write acc191, 0x0                        // initC
v_accvgpr_write acc192, 0x0                        // initC
v_accvgpr_write acc193, 0x0                        // initC
v_accvgpr_write acc194, 0x0                        // initC
v_accvgpr_write acc195, 0x0                        // initC
v_accvgpr_write acc196, 0x0                        // initC
v_accvgpr_write acc197, 0x0                        // initC
v_accvgpr_write acc198, 0x0                        // initC
v_accvgpr_write acc199, 0x0                        // initC
v_accvgpr_write acc200, 0x0                        // initC
v_accvgpr_write acc201, 0x0                        // initC
v_accvgpr_write acc202, 0x0                        // initC
v_accvgpr_write acc203, 0x0                        // initC
v_accvgpr_write acc204, 0x0                        // initC
v_accvgpr_write acc205, 0x0                        // initC
v_accvgpr_write acc206, 0x0                        // initC
v_accvgpr_write acc207, 0x0                        // initC
v_accvgpr_write acc208, 0x0                        // initC
v_accvgpr_write acc209, 0x0                        // initC
v_accvgpr_write acc210, 0x0                        // initC
v_accvgpr_write acc211, 0x0                        // initC
v_accvgpr_write acc212, 0x0                        // initC
v_accvgpr_write acc213, 0x0                        // initC
v_accvgpr_write acc214, 0x0                        // initC
v_accvgpr_write acc215, 0x0                        // initC
v_accvgpr_write acc216, 0x0                        // initC
v_accvgpr_write acc217, 0x0                        // initC
v_accvgpr_write acc218, 0x0                        // initC
v_accvgpr_write acc219, 0x0                        // initC
v_accvgpr_write acc220, 0x0                        // initC
v_accvgpr_write acc221, 0x0                        // initC
v_accvgpr_write acc222, 0x0                        // initC
v_accvgpr_write acc223, 0x0                        // initC
v_accvgpr_write acc224, 0x0                        // initC
v_accvgpr_write acc225, 0x0                        // initC
v_accvgpr_write acc226, 0x0                        // initC
v_accvgpr_write acc227, 0x0                        // initC
v_accvgpr_write acc228, 0x0                        // initC
v_accvgpr_write acc229, 0x0                        // initC
v_accvgpr_write acc230, 0x0                        // initC
v_accvgpr_write acc231, 0x0                        // initC
v_accvgpr_write acc232, 0x0                        // initC
v_accvgpr_write acc233, 0x0                        // initC
v_accvgpr_write acc234, 0x0                        // initC
v_accvgpr_write acc235, 0x0                        // initC
v_accvgpr_write acc236, 0x0                        // initC
v_accvgpr_write acc237, 0x0                        // initC
v_accvgpr_write acc238, 0x0                        // initC
v_accvgpr_write acc239, 0x0                        // initC
v_accvgpr_write acc240, 0x0                        // initC
v_accvgpr_write acc241, 0x0                        // initC
v_accvgpr_write acc242, 0x0                        // initC
v_accvgpr_write acc243, 0x0                        // initC
v_accvgpr_write acc244, 0x0                        // initC
v_accvgpr_write acc245, 0x0                        // initC
v_accvgpr_write acc246, 0x0                        // initC
v_accvgpr_write acc247, 0x0                        // initC
v_accvgpr_write acc248, 0x0                        // initC
v_accvgpr_write acc249, 0x0                        // initC
v_accvgpr_write acc250, 0x0                        // initC
v_accvgpr_write acc251, 0x0                        // initC
v_accvgpr_write acc252, 0x0                        // initC
v_accvgpr_write acc253, 0x0                        // initC
v_accvgpr_write acc254, 0x0                        // initC
v_accvgpr_write acc255, 0x0                        // initC

s_cmp_eq_u32 s[sgprLoopCounterL], 0                // at last iteration?

/* after InitC, skip to end of prefetch last iter if numIter==0 */
s_cbranch_scc0 label_NoBranch_11                   // Only branch on scc1
s_getpc_B64 s[32:33]                               // addr of next instr
s_add_i32 s34, PrefetchGlobalLastIterEnd_5, 0x4    // target branch offset
s_add_u32 s32, s32, s34                            // add target branch offset
s_addc_u32 s33, s33, 0                             // add high and carry
s_setpc_b64 s[32:33]                               // branch to PrefetchGlobalLastIterEnd_5
label_NoBranch_11:

s_waitcnt vmcnt(0)                                 // lgkmcnt=-1 vmcnt=0 8wait for global read


/* local write a */
_ds_store_b32 v[vgprLocalWriteAddrA], v[vgprG2LA+0] offset:0 // lwoA_0_0_0_0 = (0 + 0*LSCA)*(MT0I+PAD) + (0*LSPA) = 0
_ds_store_b32 v[vgprLocalWriteAddrA], v[vgprG2LA+1] offset:1024 // lwoA_0_1_0_0 = (1 + 0*LSCA)*(MT0I+PAD) + (0*LSPA) = 1024
_ds_store_b32 v[vgprLocalWriteAddrA], v[vgprG2LA+2] offset:2048 // lwoA_0_2_0_0 = (2 + 0*LSCA)*(MT0I+PAD) + (0*LSPA) = 2048
_ds_store_b32 v[vgprLocalWriteAddrA], v[vgprG2LA+3] offset:3072 // lwoA_0_3_0_0 = (3 + 0*LSCA)*(MT0I+PAD) + (0*LSPA) = 3072
_ds_store_b32 v[vgprLocalWriteAddrA], v[vgprG2LA+4] offset:128 // lwoA_0_0_1_0 = (0 + 0*LSCA)*(MT0I+PAD) + (1*LSPA) = 128
_ds_store_b32 v[vgprLocalWriteAddrA], v[vgprG2LA+5] offset:1152 // lwoA_0_1_1_0 = (1 + 0*LSCA)*(MT0I+PAD) + (1*LSPA) = 1152
_ds_store_b32 v[vgprLocalWriteAddrA], v[vgprG2LA+6] offset:2176 // lwoA_0_2_1_0 = (2 + 0*LSCA)*(MT0I+PAD) + (1*LSPA) = 2176
_ds_store_b32 v[vgprLocalWriteAddrA], v[vgprG2LA+7] offset:3200 // lwoA_0_3_1_0 = (3 + 0*LSCA)*(MT0I+PAD) + (1*LSPA) = 3200
_ds_store_b32 v[vgprLocalWriteAddrA], v[vgprG2LA+8] offset:256 // lwoA_0_0_2_0 = (0 + 0*LSCA)*(MT0I+PAD) + (2*LSPA) = 256
_ds_store_b32 v[vgprLocalWriteAddrA], v[vgprG2LA+9] offset:1280 // lwoA_0_1_2_0 = (1 + 0*LSCA)*(MT0I+PAD) + (2*LSPA) = 1280
_ds_store_b32 v[vgprLocalWriteAddrA], v[vgprG2LA+10] offset:2304 // lwoA_0_2_2_0 = (2 + 0*LSCA)*(MT0I+PAD) + (2*LSPA) = 2304
_ds_store_b32 v[vgprLocalWriteAddrA], v[vgprG2LA+11] offset:3328 // lwoA_0_3_2_0 = (3 + 0*LSCA)*(MT0I+PAD) + (2*LSPA) = 3328
_ds_store_b32 v[vgprLocalWriteAddrA], v[vgprG2LA+12] offset:384 // lwoA_0_0_3_0 = (0 + 0*LSCA)*(MT0I+PAD) + (3*LSPA) = 384
_ds_store_b32 v[vgprLocalWriteAddrA], v[vgprG2LA+13] offset:1408 // lwoA_0_1_3_0 = (1 + 0*LSCA)*(MT0I+PAD) + (3*LSPA) = 1408
_ds_store_b32 v[vgprLocalWriteAddrA], v[vgprG2LA+14] offset:2432 // lwoA_0_2_3_0 = (2 + 0*LSCA)*(MT0I+PAD) + (3*LSPA) = 2432
_ds_store_b32 v[vgprLocalWriteAddrA], v[vgprG2LA+15] offset:3456 // lwoA_0_3_3_0 = (3 + 0*LSCA)*(MT0I+PAD) + (3*LSPA) = 3456
_ds_store_b32 v[vgprLocalWriteAddrA], v[vgprG2LA+16] offset:512 // lwoA_0_0_4_0 = (0 + 0*LSCA)*(MT0I+PAD) + (4*LSPA) = 512
_ds_store_b32 v[vgprLocalWriteAddrA], v[vgprG2LA+17] offset:1536 // lwoA_0_1_4_0 = (1 + 0*LSCA)*(MT0I+PAD) + (4*LSPA) = 1536
_ds_store_b32 v[vgprLocalWriteAddrA], v[vgprG2LA+18] offset:2560 // lwoA_0_2_4_0 = (2 + 0*LSCA)*(MT0I+PAD) + (4*LSPA) = 2560
_ds_store_b32 v[vgprLocalWriteAddrA], v[vgprG2LA+19] offset:3584 // lwoA_0_3_4_0 = (3 + 0*LSCA)*(MT0I+PAD) + (4*LSPA) = 3584
_ds_store_b32 v[vgprLocalWriteAddrA], v[vgprG2LA+20] offset:640 // lwoA_0_0_5_0 = (0 + 0*LSCA)*(MT0I+PAD) + (5*LSPA) = 640
_ds_store_b32 v[vgprLocalWriteAddrA], v[vgprG2LA+21] offset:1664 // lwoA_0_1_5_0 = (1 + 0*LSCA)*(MT0I+PAD) + (5*LSPA) = 1664
_ds_store_b32 v[vgprLocalWriteAddrA], v[vgprG2LA+22] offset:2688 // lwoA_0_2_5_0 = (2 + 0*LSCA)*(MT0I+PAD) + (5*LSPA) = 2688
_ds_store_b32 v[vgprLocalWriteAddrA], v[vgprG2LA+23] offset:3712 // lwoA_0_3_5_0 = (3 + 0*LSCA)*(MT0I+PAD) + (5*LSPA) = 3712
_ds_store_b32 v[vgprLocalWriteAddrA], v[vgprG2LA+24] offset:768 // lwoA_0_0_6_0 = (0 + 0*LSCA)*(MT0I+PAD) + (6*LSPA) = 768
_ds_store_b32 v[vgprLocalWriteAddrA], v[vgprG2LA+25] offset:1792 // lwoA_0_1_6_0 = (1 + 0*LSCA)*(MT0I+PAD) + (6*LSPA) = 1792
_ds_store_b32 v[vgprLocalWriteAddrA], v[vgprG2LA+26] offset:2816 // lwoA_0_2_6_0 = (2 + 0*LSCA)*(MT0I+PAD) + (6*LSPA) = 2816
_ds_store_b32 v[vgprLocalWriteAddrA], v[vgprG2LA+27] offset:3840 // lwoA_0_3_6_0 = (3 + 0*LSCA)*(MT0I+PAD) + (6*LSPA) = 3840
_ds_store_b32 v[vgprLocalWriteAddrA], v[vgprG2LA+28] offset:896 // lwoA_0_0_7_0 = (0 + 0*LSCA)*(MT0I+PAD) + (7*LSPA) = 896
_ds_store_b32 v[vgprLocalWriteAddrA], v[vgprG2LA+29] offset:1920 // lwoA_0_1_7_0 = (1 + 0*LSCA)*(MT0I+PAD) + (7*LSPA) = 1920
_ds_store_b32 v[vgprLocalWriteAddrA], v[vgprG2LA+30] offset:2944 // lwoA_0_2_7_0 = (2 + 0*LSCA)*(MT0I+PAD) + (7*LSPA) = 2944
_ds_store_b32 v[vgprLocalWriteAddrA], v[vgprG2LA+31] offset:3968 // lwoA_0_3_7_0 = (3 + 0*LSCA)*(MT0I+PAD) + (7*LSPA) = 3968

/* local write b */
_ds_store_b32 v[vgprLocalWriteAddrB], v[vgprG2LB+0] offset:0 // lwoB_0_0_0_0 = (0 + 0*LSCB)*(MT1J+PAD) + (0*LSPB) = 0
_ds_store_b32 v[vgprLocalWriteAddrB], v[vgprG2LB+1] offset:1024 // lwoB_0_1_0_0 = (1 + 0*LSCB)*(MT1J+PAD) + (0*LSPB) = 1024
_ds_store_b32 v[vgprLocalWriteAddrB], v[vgprG2LB+2] offset:2048 // lwoB_0_2_0_0 = (2 + 0*LSCB)*(MT1J+PAD) + (0*LSPB) = 2048
_ds_store_b32 v[vgprLocalWriteAddrB], v[vgprG2LB+3] offset:3072 // lwoB_0_3_0_0 = (3 + 0*LSCB)*(MT1J+PAD) + (0*LSPB) = 3072
_ds_store_b32 v[vgprLocalWriteAddrB], v[vgprG2LB+4] offset:128 // lwoB_0_0_1_0 = (0 + 0*LSCB)*(MT1J+PAD) + (1*LSPB) = 128
_ds_store_b32 v[vgprLocalWriteAddrB], v[vgprG2LB+5] offset:1152 // lwoB_0_1_1_0 = (1 + 0*LSCB)*(MT1J+PAD) + (1*LSPB) = 1152
_ds_store_b32 v[vgprLocalWriteAddrB], v[vgprG2LB+6] offset:2176 // lwoB_0_2_1_0 = (2 + 0*LSCB)*(MT1J+PAD) + (1*LSPB) = 2176
_ds_store_b32 v[vgprLocalWriteAddrB], v[vgprG2LB+7] offset:3200 // lwoB_0_3_1_0 = (3 + 0*LSCB)*(MT1J+PAD) + (1*LSPB) = 3200
_ds_store_b32 v[vgprLocalWriteAddrB], v[vgprG2LB+8] offset:256 // lwoB_0_0_2_0 = (0 + 0*LSCB)*(MT1J+PAD) + (2*LSPB) = 256
_ds_store_b32 v[vgprLocalWriteAddrB], v[vgprG2LB+9] offset:1280 // lwoB_0_1_2_0 = (1 + 0*LSCB)*(MT1J+PAD) + (2*LSPB) = 1280
_ds_store_b32 v[vgprLocalWriteAddrB], v[vgprG2LB+10] offset:2304 // lwoB_0_2_2_0 = (2 + 0*LSCB)*(MT1J+PAD) + (2*LSPB) = 2304
_ds_store_b32 v[vgprLocalWriteAddrB], v[vgprG2LB+11] offset:3328 // lwoB_0_3_2_0 = (3 + 0*LSCB)*(MT1J+PAD) + (2*LSPB) = 3328
_ds_store_b32 v[vgprLocalWriteAddrB], v[vgprG2LB+12] offset:384 // lwoB_0_0_3_0 = (0 + 0*LSCB)*(MT1J+PAD) + (3*LSPB) = 384
_ds_store_b32 v[vgprLocalWriteAddrB], v[vgprG2LB+13] offset:1408 // lwoB_0_1_3_0 = (1 + 0*LSCB)*(MT1J+PAD) + (3*LSPB) = 1408
_ds_store_b32 v[vgprLocalWriteAddrB], v[vgprG2LB+14] offset:2432 // lwoB_0_2_3_0 = (2 + 0*LSCB)*(MT1J+PAD) + (3*LSPB) = 2432
_ds_store_b32 v[vgprLocalWriteAddrB], v[vgprG2LB+15] offset:3456 // lwoB_0_3_3_0 = (3 + 0*LSCB)*(MT1J+PAD) + (3*LSPB) = 3456
_ds_store_b32 v[vgprLocalWriteAddrB], v[vgprG2LB+16] offset:512 // lwoB_0_0_4_0 = (0 + 0*LSCB)*(MT1J+PAD) + (4*LSPB) = 512
_ds_store_b32 v[vgprLocalWriteAddrB], v[vgprG2LB+17] offset:1536 // lwoB_0_1_4_0 = (1 + 0*LSCB)*(MT1J+PAD) + (4*LSPB) = 1536
_ds_store_b32 v[vgprLocalWriteAddrB], v[vgprG2LB+18] offset:2560 // lwoB_0_2_4_0 = (2 + 0*LSCB)*(MT1J+PAD) + (4*LSPB) = 2560
_ds_store_b32 v[vgprLocalWriteAddrB], v[vgprG2LB+19] offset:3584 // lwoB_0_3_4_0 = (3 + 0*LSCB)*(MT1J+PAD) + (4*LSPB) = 3584
_ds_store_b32 v[vgprLocalWriteAddrB], v[vgprG2LB+20] offset:640 // lwoB_0_0_5_0 = (0 + 0*LSCB)*(MT1J+PAD) + (5*LSPB) = 640
_ds_store_b32 v[vgprLocalWriteAddrB], v[vgprG2LB+21] offset:1664 // lwoB_0_1_5_0 = (1 + 0*LSCB)*(MT1J+PAD) + (5*LSPB) = 1664
_ds_store_b32 v[vgprLocalWriteAddrB], v[vgprG2LB+22] offset:2688 // lwoB_0_2_5_0 = (2 + 0*LSCB)*(MT1J+PAD) + (5*LSPB) = 2688
_ds_store_b32 v[vgprLocalWriteAddrB], v[vgprG2LB+23] offset:3712 // lwoB_0_3_5_0 = (3 + 0*LSCB)*(MT1J+PAD) + (5*LSPB) = 3712
_ds_store_b32 v[vgprLocalWriteAddrB], v[vgprG2LB+24] offset:768 // lwoB_0_0_6_0 = (0 + 0*LSCB)*(MT1J+PAD) + (6*LSPB) = 768
_ds_store_b32 v[vgprLocalWriteAddrB], v[vgprG2LB+25] offset:1792 // lwoB_0_1_6_0 = (1 + 0*LSCB)*(MT1J+PAD) + (6*LSPB) = 1792
_ds_store_b32 v[vgprLocalWriteAddrB], v[vgprG2LB+26] offset:2816 // lwoB_0_2_6_0 = (2 + 0*LSCB)*(MT1J+PAD) + (6*LSPB) = 2816
_ds_store_b32 v[vgprLocalWriteAddrB], v[vgprG2LB+27] offset:3840 // lwoB_0_3_6_0 = (3 + 0*LSCB)*(MT1J+PAD) + (6*LSPB) = 3840
_ds_store_b32 v[vgprLocalWriteAddrB], v[vgprG2LB+28] offset:896 // lwoB_0_0_7_0 = (0 + 0*LSCB)*(MT1J+PAD) + (7*LSPB) = 896
_ds_store_b32 v[vgprLocalWriteAddrB], v[vgprG2LB+29] offset:1920 // lwoB_0_1_7_0 = (1 + 0*LSCB)*(MT1J+PAD) + (7*LSPB) = 1920
_ds_store_b32 v[vgprLocalWriteAddrB], v[vgprG2LB+30] offset:2944 // lwoB_0_2_7_0 = (2 + 0*LSCB)*(MT1J+PAD) + (7*LSPB) = 2944
_ds_store_b32 v[vgprLocalWriteAddrB], v[vgprG2LB+31] offset:3968 // lwoB_0_3_7_0 = (3 + 0*LSCB)*(MT1J+PAD) + (7*LSPB) = 3968


/* local write swap a */


	;; [unrolled: 1-line block ×3, first 2 shown]
/* local write swap b */


	;; [unrolled: 1-line block ×4, first 2 shown]
s_cmp_eq_u32 s[sgprLoopCounterL] 0x1               // PGR=2 but only 1 loop
s_cbranch_scc1 label_0012                          // PGR=2 but only 1 loop


_buffer_load_b128 v[vgprG2LA+0:vgprG2LA+0+3], v[vgprGlobalReadOffsetA+0], s[sgprSrdA:sgprSrdA+3], 0, offen offset:0 // G -> Reg 0_0_0_0
_buffer_load_b128 v[vgprG2LA+4:vgprG2LA+4+3], v[vgprGlobalReadOffsetA+0], s[sgprSrdA:sgprSrdA+3], s[sgprScalarGlobalReadOffsetA+0], offen offset:0 // G -> Reg 0_0_1_0
_buffer_load_b128 v[vgprG2LA+8:vgprG2LA+8+3], v[vgprGlobalReadOffsetA+0], s[sgprSrdA:sgprSrdA+3], s[sgprScalarGlobalReadOffsetA+1], offen offset:0 // G -> Reg 0_0_2_0
_buffer_load_b128 v[vgprG2LA+12:vgprG2LA+12+3], v[vgprGlobalReadOffsetA+0], s[sgprSrdA:sgprSrdA+3], s[sgprScalarGlobalReadOffsetA+2], offen offset:0 // G -> Reg 0_0_3_0
_buffer_load_b128 v[vgprG2LA+16:vgprG2LA+16+3], v[vgprGlobalReadOffsetA+0], s[sgprSrdA:sgprSrdA+3], s[sgprScalarGlobalReadOffsetA+3], offen offset:0 // G -> Reg 0_0_4_0
_buffer_load_b128 v[vgprG2LA+20:vgprG2LA+20+3], v[vgprGlobalReadOffsetA+0], s[sgprSrdA:sgprSrdA+3], s[sgprScalarGlobalReadOffsetA+4], offen offset:0 // G -> Reg 0_0_5_0
_buffer_load_b128 v[vgprG2LA+24:vgprG2LA+24+3], v[vgprGlobalReadOffsetA+0], s[sgprSrdA:sgprSrdA+3], s[sgprScalarGlobalReadOffsetA+5], offen offset:0 // G -> Reg 0_0_6_0
_buffer_load_b128 v[vgprG2LA+28:vgprG2LA+28+3], v[vgprGlobalReadOffsetA+0], s[sgprSrdA:sgprSrdA+3], s[sgprScalarGlobalReadOffsetA+6], offen offset:0 // G -> Reg 0_0_7_0


_buffer_load_b128 v[vgprG2LB+0:vgprG2LB+0+3], v[vgprGlobalReadOffsetB+0], s[sgprSrdB:sgprSrdB+3], 0, offen offset:0 // G -> Reg 0_0_0_0
_buffer_load_b128 v[vgprG2LB+4:vgprG2LB+4+3], v[vgprGlobalReadOffsetB+0], s[sgprSrdB:sgprSrdB+3], s[sgprScalarGlobalReadOffsetB+0], offen offset:0 // G -> Reg 0_0_1_0
_buffer_load_b128 v[vgprG2LB+8:vgprG2LB+8+3], v[vgprGlobalReadOffsetB+0], s[sgprSrdB:sgprSrdB+3], s[sgprScalarGlobalReadOffsetB+1], offen offset:0 // G -> Reg 0_0_2_0
_buffer_load_b128 v[vgprG2LB+12:vgprG2LB+12+3], v[vgprGlobalReadOffsetB+0], s[sgprSrdB:sgprSrdB+3], s[sgprScalarGlobalReadOffsetB+2], offen offset:0 // G -> Reg 0_0_3_0
_buffer_load_b128 v[vgprG2LB+16:vgprG2LB+16+3], v[vgprGlobalReadOffsetB+0], s[sgprSrdB:sgprSrdB+3], s[sgprScalarGlobalReadOffsetB+3], offen offset:0 // G -> Reg 0_0_4_0
_buffer_load_b128 v[vgprG2LB+20:vgprG2LB+20+3], v[vgprGlobalReadOffsetB+0], s[sgprSrdB:sgprSrdB+3], s[sgprScalarGlobalReadOffsetB+4], offen offset:0 // G -> Reg 0_0_5_0
_buffer_load_b128 v[vgprG2LB+24:vgprG2LB+24+3], v[vgprGlobalReadOffsetB+0], s[sgprSrdB:sgprSrdB+3], s[sgprScalarGlobalReadOffsetB+5], offen offset:0 // G -> Reg 0_0_6_0
_buffer_load_b128 v[vgprG2LB+28:vgprG2LB+28+3], v[vgprGlobalReadOffsetB+0], s[sgprSrdB:sgprSrdB+3], s[sgprScalarGlobalReadOffsetB+6], offen offset:0 // G -> Reg 0_0_7_0

label_0012:                                        // 

s_waitcnt lgkmcnt(0)                               // lgkmcnt=0 vmcnt=-10prefetch wait for local write

// Skip force waitcnt0
s_barrier //


/* local read prefetch a */

_ds_load_b32 v[vgprValuA_X0_I0+0], v[vgprLocalReadAddrA] offset:0 // L -> Reg lro=0 swapByteOffset=0 ti=128 vIdx=0 rIdx=0 oIdx=0 buffer=0 iui=0
_ds_load_b32 v[vgprValuA_X0_I0+1], v[vgprLocalReadAddrA] offset:4 // L -> Reg lro=0 swapByteOffset=0 ti=128 vIdx=0 rIdx=0 oIdx=0 buffer=0 iui=0
	;; [unrolled: 1-line block ×4, first 2 shown]


/* local read prefetch b */

_ds_load_b32 v[vgprValuB_X0_I0+0], v[vgprLocalReadAddrB] offset:0 // L -> Reg lro=0 swapByteOffset=0 ti=64 vIdx=0 rIdx=0 oIdx=0 buffer=0 iui=0
_ds_load_b32 v[vgprValuB_X0_I0+1], v[vgprLocalReadAddrB] offset:256 // L -> Reg lro=0 swapByteOffset=0 ti=64 vIdx=1 rIdx=0 oIdx=0 buffer=0 iui=0
	;; [unrolled: 1-line block ×4, first 2 shown]


/* local read inc a */

/* N/A, lro->512 */
/* self.localReadDoCntA 1 self.localReadDoCntB 1 */


/* local read inc b */

/* N/A, lro->512 */
/* self.localReadDoCntA 1 self.localReadDoCntB 1 */


	;; [unrolled: 1-line block ×3, first 2 shown]
/******************************************/
/* Unrolled Loop(s) - Begin               */
/******************************************/

openLoopL_13:
s_cmp_eq_u32 s[sgprLoopCounterL], 0x1              // LoopCounterL < EndCounter
s_cbranch_scc1 label_0014                          // PGR=2 but only 1 loop, toPGR1
s_cmp_le_u32 s[sgprLoopCounterL], 0x2              // LoopCounterL < EndCounter
s_cbranch_scc1 LoopEndL_evenexit_4                 // do not enter LoopL
LoopBeginL_1:


/******************************************/
/* Unrolled Loop 1/2 - Begin              */
/******************************************/

label_0015: // LoopCopy1 


/* Begin Each Unroll: Check VGPR.checkin for INT8 LW */


	;; [unrolled: 1-line block ×3, first 2 shown]
/* iter 0 */

/*  grEndMfmaIndex:2, lwStartMfmaIndex:37, lwEndMfmaIndex:252  */
/*  numMfmaForLR:2, barrierMfmaIndex:253, LocalWritePerMfma:0.070 */
/*  mfmaIndex:0  */
s_waitcnt lgkmcnt(0)                               // lgkmcnt=0 vmcnt=-1wait for prior local read local write old=0, new=0 newLW=0 newLR=0
v_mfma_f32_32x32x2_f32 a[0+0:15+0], v[vgprValuA_X0_I0+0+0+0], v[vgprValuB_X0_I0+0+0+0], a[0:15]
/*  mfmaIndex:1  */
_ds_load_b32 v[vgprValuA_X1_I0+0], v[vgprLocalReadAddrA] offset:2048 // L -> Reg lro=512 swapByteOffset=0 ti=128 vIdx=0 rIdx=0 oIdx=0 buffer=1 iui=0
_ds_load_b32 v[vgprValuB_X1_I0+0], v[vgprLocalReadAddrB] offset:2048 // L -> Reg lro=512 swapByteOffset=0 ti=64 vIdx=0 rIdx=0 oIdx=0 buffer=1 iui=0
_ds_load_b32 v[vgprValuA_X1_I0+1], v[vgprLocalReadAddrA] offset:2052 // L -> Reg lro=512 swapByteOffset=0 ti=128 vIdx=0 rIdx=0 oIdx=0 buffer=1 iui=0
_ds_load_b32 v[vgprValuA_X1_I0+2], v[vgprLocalReadAddrA] offset:2560 // L -> Reg lro=512 swapByteOffset=0 ti=128 vIdx=1 rIdx=0 oIdx=0 buffer=1 iui=0
	;; [unrolled: 1-line block ×3, first 2 shown]
_ds_load_b32 v[vgprValuB_X1_I0+1], v[vgprLocalReadAddrB] offset:2304 // L -> Reg lro=512 swapByteOffset=0 ti=64 vIdx=1 rIdx=0 oIdx=0 buffer=1 iui=0

/* global read inc A loopL */
s_add_u32 s[sgprSrdA+0], s[sgprSrdA+0], s[sgprGlobalReadIncsA+0] // gra SRD += inc(lower)
s_addc_u32  s[sgprSrdA+1], s[sgprSrdA+1], 0        // gra SRD += inc(upper)
s_sub_u32 s[sgprShadowLimitA+0], s[sgprShadowLimitA+0], s[sgprGlobalReadIncsA+0] // limit -= inc)
s_subb_u32 s[sgprShadowLimitA+1], s[sgprShadowLimitA+1], 0 // limit -= inc)
s_cmp_eq_u32 s[sgprShadowLimitA+1], 0              // are we within 2^32?
s_cmov_b32 s[sgprSrdA+2], s[sgprShadowLimitA+0]    // Move shadow to real if we are within 2^32

/* global read inc B loopL */
s_add_u32 s[sgprSrdB+0], s[sgprSrdB+0], s[sgprGlobalReadIncsB+0] // gra SRD += inc(lower)
v_mfma_f32_32x32x2_f32 a[16+0:31+0], v[vgprValuA_X0_I0+1+0+0], v[vgprValuB_X0_I0+0+0+0], a[16:31]
/*  mfmaIndex:2  */
_ds_load_b32 v[vgprValuB_X1_I0+2], v[vgprLocalReadAddrB] offset:2560 // L -> Reg lro=512 swapByteOffset=0 ti=64 vIdx=2 rIdx=0 oIdx=0 buffer=1 iui=0
_ds_load_b32 v[vgprValuB_X1_I0+3], v[vgprLocalReadAddrB] offset:2816 // L -> Reg lro=512 swapByteOffset=0 ti=64 vIdx=3 rIdx=0 oIdx=0 buffer=1 iui=0
/* localReadsVacancy: latencyLeft 9 */
_ds_load_b32 v[vgprValuA_X2_I0+0], v[vgprLocalReadAddrA] offset:4096 // L -> Reg lro=1024 swapByteOffset=0 ti=128 vIdx=0 rIdx=0 oIdx=0 buffer=2 iui=0
_ds_load_b32 v[vgprValuB_X2_I0+0], v[vgprLocalReadAddrB] offset:4096 // L -> Reg lro=1024 swapByteOffset=0 ti=64 vIdx=0 rIdx=0 oIdx=0 buffer=2 iui=0
_ds_load_b32 v[vgprValuA_X2_I0+1], v[vgprLocalReadAddrA] offset:4100 // L -> Reg lro=1024 swapByteOffset=0 ti=128 vIdx=0 rIdx=0 oIdx=0 buffer=2 iui=0
_ds_load_b32 v[vgprValuA_X2_I0+2], v[vgprLocalReadAddrA] offset:4608 // L -> Reg lro=1024 swapByteOffset=0 ti=128 vIdx=1 rIdx=0 oIdx=0 buffer=2 iui=0
s_addc_u32  s[sgprSrdB+1], s[sgprSrdB+1], 0        // gra SRD += inc(upper)
s_sub_u32 s[sgprShadowLimitB+0], s[sgprShadowLimitB+0], s[sgprGlobalReadIncsB+0] // limit -= inc)
s_subb_u32 s[sgprShadowLimitB+1], s[sgprShadowLimitB+1], 0 // limit -= inc)
s_cmp_eq_u32 s[sgprShadowLimitB+1], 0              // are we within 2^32?
s_cmov_b32 s[sgprSrdB+2], s[sgprShadowLimitB+0]    // Move shadow to real if we are within 2^32
v_mfma_f32_32x32x2_f32 a[32+0:47+0], v[vgprValuA_X0_I0+2+0+0], v[vgprValuB_X0_I0+0+0+0], a[32:47]
/*  mfmaIndex:3  */
/* localReadsVacancy: latencyLeft 13 */
_ds_load_b32 v[vgprValuA_X2_I0+3], v[vgprLocalReadAddrA] offset:4612 // L -> Reg lro=1024 swapByteOffset=0 ti=128 vIdx=1 rIdx=0 oIdx=0 buffer=2 iui=0
_ds_load_b32 v[vgprValuB_X2_I0+1], v[vgprLocalReadAddrB] offset:4352 // L -> Reg lro=1024 swapByteOffset=0 ti=64 vIdx=1 rIdx=0 oIdx=0 buffer=2 iui=0
_ds_load_b32 v[vgprValuB_X2_I0+2], v[vgprLocalReadAddrB] offset:4608 // L -> Reg lro=1024 swapByteOffset=0 ti=64 vIdx=2 rIdx=0 oIdx=0 buffer=2 iui=0
	;; [unrolled: 1-line block ×3, first 2 shown]
_ds_load_b32 v[vgprValuA_X3_I0+0], v[vgprLocalReadAddrA] offset:6144 // L -> Reg lro=1536 swapByteOffset=0 ti=128 vIdx=0 rIdx=0 oIdx=0 buffer=3 iui=0
_ds_load_b32 v[vgprValuB_X3_I0+0], v[vgprLocalReadAddrB] offset:6144 // L -> Reg lro=1536 swapByteOffset=0 ti=64 vIdx=0 rIdx=0 oIdx=0 buffer=3 iui=0
v_mfma_f32_32x32x2_f32 a[48+0:63+0], v[vgprValuA_X0_I0+3+0+0], v[vgprValuB_X0_I0+0+0+0], a[48:63]
/*  mfmaIndex:4  */
/* localReadsVacancy: latencyLeft 13 */
_ds_load_b32 v[vgprValuA_X3_I0+1], v[vgprLocalReadAddrA] offset:6148 // L -> Reg lro=1536 swapByteOffset=0 ti=128 vIdx=0 rIdx=0 oIdx=0 buffer=3 iui=0
_ds_load_b32 v[vgprValuA_X3_I0+2], v[vgprLocalReadAddrA] offset:6656 // L -> Reg lro=1536 swapByteOffset=0 ti=128 vIdx=1 rIdx=0 oIdx=0 buffer=3 iui=0
	;; [unrolled: 1-line block ×3, first 2 shown]
_ds_load_b32 v[vgprValuB_X3_I0+1], v[vgprLocalReadAddrB] offset:6400 // L -> Reg lro=1536 swapByteOffset=0 ti=64 vIdx=1 rIdx=0 oIdx=0 buffer=3 iui=0
_ds_load_b32 v[vgprValuB_X3_I0+2], v[vgprLocalReadAddrB] offset:6656 // L -> Reg lro=1536 swapByteOffset=0 ti=64 vIdx=2 rIdx=0 oIdx=0 buffer=3 iui=0
	;; [unrolled: 1-line block ×3, first 2 shown]
v_mfma_f32_32x32x2_f32 a[112+0:127+0], v[vgprValuA_X0_I0+3+0+0], v[vgprValuB_X0_I0+1+0+0], a[112:127]
/*  mfmaIndex:5  */
/* localReadsVacancy: latencyLeft 13 */
_ds_load_b32 v[vgprValuA_X4_I0+0], v[vgprLocalReadAddrA] offset:8192 // L -> Reg lro=2048 swapByteOffset=0 ti=128 vIdx=0 rIdx=0 oIdx=0 buffer=4 iui=0
_ds_load_b32 v[vgprValuB_X4_I0+0], v[vgprLocalReadAddrB] offset:8192 // L -> Reg lro=2048 swapByteOffset=0 ti=64 vIdx=0 rIdx=0 oIdx=0 buffer=4 iui=0
_ds_load_b32 v[vgprValuA_X4_I0+1], v[vgprLocalReadAddrA] offset:8196 // L -> Reg lro=2048 swapByteOffset=0 ti=128 vIdx=0 rIdx=0 oIdx=0 buffer=4 iui=0
_ds_load_b32 v[vgprValuA_X4_I0+2], v[vgprLocalReadAddrA] offset:8704 // L -> Reg lro=2048 swapByteOffset=0 ti=128 vIdx=1 rIdx=0 oIdx=0 buffer=4 iui=0
	;; [unrolled: 1-line block ×3, first 2 shown]
_ds_load_b32 v[vgprValuB_X4_I0+1], v[vgprLocalReadAddrB] offset:8448 // L -> Reg lro=2048 swapByteOffset=0 ti=64 vIdx=1 rIdx=0 oIdx=0 buffer=4 iui=0
v_mfma_f32_32x32x2_f32 a[96+0:111+0], v[vgprValuA_X0_I0+2+0+0], v[vgprValuB_X0_I0+1+0+0], a[96:111]
/*  mfmaIndex:6  */
/* localReadsVacancy: latencyLeft 13 */
_ds_load_b32 v[vgprValuB_X4_I0+2], v[vgprLocalReadAddrB] offset:8704 // L -> Reg lro=2048 swapByteOffset=0 ti=64 vIdx=2 rIdx=0 oIdx=0 buffer=4 iui=0
_ds_load_b32 v[vgprValuB_X4_I0+3], v[vgprLocalReadAddrB] offset:8960 // L -> Reg lro=2048 swapByteOffset=0 ti=64 vIdx=3 rIdx=0 oIdx=0 buffer=4 iui=0
_ds_load_b32 v[vgprValuA_X5_I0+0], v[vgprLocalReadAddrA] offset:10240 // L -> Reg lro=2560 swapByteOffset=0 ti=128 vIdx=0 rIdx=0 oIdx=0 buffer=5 iui=0
_ds_load_b32 v[vgprValuB_X5_I0+0], v[vgprLocalReadAddrB] offset:10240 // L -> Reg lro=2560 swapByteOffset=0 ti=64 vIdx=0 rIdx=0 oIdx=0 buffer=5 iui=0
_ds_load_b32 v[vgprValuA_X5_I0+1], v[vgprLocalReadAddrA] offset:10244 // L -> Reg lro=2560 swapByteOffset=0 ti=128 vIdx=0 rIdx=0 oIdx=0 buffer=5 iui=0
_ds_load_b32 v[vgprValuA_X5_I0+2], v[vgprLocalReadAddrA] offset:10752 // L -> Reg lro=2560 swapByteOffset=0 ti=128 vIdx=1 rIdx=0 oIdx=0 buffer=5 iui=0
v_mfma_f32_32x32x2_f32 a[80+0:95+0], v[vgprValuA_X0_I0+1+0+0], v[vgprValuB_X0_I0+1+0+0], a[80:95]
/*  mfmaIndex:7  */
/* localReadsVacancy: latencyLeft 13 */
_ds_load_b32 v[vgprValuA_X5_I0+3], v[vgprLocalReadAddrA] offset:10756 // L -> Reg lro=2560 swapByteOffset=0 ti=128 vIdx=1 rIdx=0 oIdx=0 buffer=5 iui=0
_ds_load_b32 v[vgprValuB_X5_I0+1], v[vgprLocalReadAddrB] offset:10496 // L -> Reg lro=2560 swapByteOffset=0 ti=64 vIdx=1 rIdx=0 oIdx=0 buffer=5 iui=0
_ds_load_b32 v[vgprValuB_X5_I0+2], v[vgprLocalReadAddrB] offset:10752 // L -> Reg lro=2560 swapByteOffset=0 ti=64 vIdx=2 rIdx=0 oIdx=0 buffer=5 iui=0
	;; [unrolled: 1-line block ×3, first 2 shown]
_ds_load_b32 v[vgprValuA_X6_I0+0], v[vgprLocalReadAddrA] offset:12288 // L -> Reg lro=3072 swapByteOffset=0 ti=128 vIdx=0 rIdx=0 oIdx=0 buffer=6 iui=0
_ds_load_b32 v[vgprValuB_X6_I0+0], v[vgprLocalReadAddrB] offset:12288 // L -> Reg lro=3072 swapByteOffset=0 ti=64 vIdx=0 rIdx=0 oIdx=0 buffer=6 iui=0
v_mfma_f32_32x32x2_f32 a[64+0:79+0], v[vgprValuA_X0_I0+0+0+0], v[vgprValuB_X0_I0+1+0+0], a[64:79]
/*  mfmaIndex:8  */
/* localReadsVacancy: latencyLeft 13 */
_ds_load_b32 v[vgprValuA_X6_I0+1], v[vgprLocalReadAddrA] offset:12292 // L -> Reg lro=3072 swapByteOffset=0 ti=128 vIdx=0 rIdx=0 oIdx=0 buffer=6 iui=0
_ds_load_b32 v[vgprValuA_X6_I0+2], v[vgprLocalReadAddrA] offset:12800 // L -> Reg lro=3072 swapByteOffset=0 ti=128 vIdx=1 rIdx=0 oIdx=0 buffer=6 iui=0
	;; [unrolled: 1-line block ×3, first 2 shown]
_ds_load_b32 v[vgprValuB_X6_I0+1], v[vgprLocalReadAddrB] offset:12544 // L -> Reg lro=3072 swapByteOffset=0 ti=64 vIdx=1 rIdx=0 oIdx=0 buffer=6 iui=0
_ds_load_b32 v[vgprValuB_X6_I0+2], v[vgprLocalReadAddrB] offset:12800 // L -> Reg lro=3072 swapByteOffset=0 ti=64 vIdx=2 rIdx=0 oIdx=0 buffer=6 iui=0
_ds_load_b32 v[vgprValuB_X6_I0+3], v[vgprLocalReadAddrB] offset:13056 // L -> Reg lro=3072 swapByteOffset=0 ti=64 vIdx=3 rIdx=0 oIdx=0 buffer=6 iui=0
v_mfma_f32_32x32x2_f32 a[128+0:143+0], v[vgprValuA_X0_I0+0+0+0], v[vgprValuB_X0_I0+2+0+0], a[128:143]
/*  mfmaIndex:9  */
/* localReadsVacancy: latencyLeft 13 */
_ds_load_b32 v[vgprValuA_X7_I0+0], v[vgprLocalReadAddrA] offset:14336 // L -> Reg lro=3584 swapByteOffset=0 ti=128 vIdx=0 rIdx=0 oIdx=0 buffer=7 iui=0
_ds_load_b32 v[vgprValuB_X7_I0+0], v[vgprLocalReadAddrB] offset:14336 // L -> Reg lro=3584 swapByteOffset=0 ti=64 vIdx=0 rIdx=0 oIdx=0 buffer=7 iui=0
_ds_load_b32 v[vgprValuA_X7_I0+1], v[vgprLocalReadAddrA] offset:14340 // L -> Reg lro=3584 swapByteOffset=0 ti=128 vIdx=0 rIdx=0 oIdx=0 buffer=7 iui=0
_ds_load_b32 v[vgprValuA_X7_I0+2], v[vgprLocalReadAddrA] offset:14848 // L -> Reg lro=3584 swapByteOffset=0 ti=128 vIdx=1 rIdx=0 oIdx=0 buffer=7 iui=0
	;; [unrolled: 1-line block ×3, first 2 shown]
_ds_load_b32 v[vgprValuB_X7_I0+1], v[vgprLocalReadAddrB] offset:14592 // L -> Reg lro=3584 swapByteOffset=0 ti=64 vIdx=1 rIdx=0 oIdx=0 buffer=7 iui=0
v_mfma_f32_32x32x2_f32 a[144+0:159+0], v[vgprValuA_X0_I0+1+0+0], v[vgprValuB_X0_I0+2+0+0], a[144:159]
/*  mfmaIndex:10  */
/* localReadsVacancy: latencyLeft 13 */
_ds_load_b32 v[vgprValuB_X7_I0+2], v[vgprLocalReadAddrB] offset:14848 // L -> Reg lro=3584 swapByteOffset=0 ti=64 vIdx=2 rIdx=0 oIdx=0 buffer=7 iui=0
_ds_load_b32 v[vgprValuB_X7_I0+3], v[vgprLocalReadAddrB] offset:15104 // L -> Reg lro=3584 swapByteOffset=0 ti=64 vIdx=3 rIdx=0 oIdx=0 buffer=7 iui=0
_ds_load_b32 v[vgprValuA_X8_I0+0], v[vgprLocalReadAddrA] offset:16384 // L -> Reg lro=4096 swapByteOffset=0 ti=128 vIdx=0 rIdx=0 oIdx=0 buffer=8 iui=0
_ds_load_b32 v[vgprValuB_X8_I0+0], v[vgprLocalReadAddrB] offset:16384 // L -> Reg lro=4096 swapByteOffset=0 ti=64 vIdx=0 rIdx=0 oIdx=0 buffer=8 iui=0
_ds_load_b32 v[vgprValuA_X8_I0+1], v[vgprLocalReadAddrA] offset:16388 // L -> Reg lro=4096 swapByteOffset=0 ti=128 vIdx=0 rIdx=0 oIdx=0 buffer=8 iui=0
_ds_load_b32 v[vgprValuA_X8_I0+2], v[vgprLocalReadAddrA] offset:16896 // L -> Reg lro=4096 swapByteOffset=0 ti=128 vIdx=1 rIdx=0 oIdx=0 buffer=8 iui=0
v_mfma_f32_32x32x2_f32 a[160+0:175+0], v[vgprValuA_X0_I0+2+0+0], v[vgprValuB_X0_I0+2+0+0], a[160:175]
/*  mfmaIndex:11  */
/* localReadsVacancy: latencyLeft 13 */
_ds_load_b32 v[vgprValuA_X8_I0+3], v[vgprLocalReadAddrA] offset:16900 // L -> Reg lro=4096 swapByteOffset=0 ti=128 vIdx=1 rIdx=0 oIdx=0 buffer=8 iui=0
_ds_load_b32 v[vgprValuB_X8_I0+1], v[vgprLocalReadAddrB] offset:16640 // L -> Reg lro=4096 swapByteOffset=0 ti=64 vIdx=1 rIdx=0 oIdx=0 buffer=8 iui=0
_ds_load_b32 v[vgprValuB_X8_I0+2], v[vgprLocalReadAddrB] offset:16896 // L -> Reg lro=4096 swapByteOffset=0 ti=64 vIdx=2 rIdx=0 oIdx=0 buffer=8 iui=0
	;; [unrolled: 1-line block ×3, first 2 shown]
_ds_load_b32 v[vgprValuA_X9_I0+0], v[vgprLocalReadAddrA] offset:18432 // L -> Reg lro=4608 swapByteOffset=0 ti=128 vIdx=0 rIdx=0 oIdx=0 buffer=9 iui=0
_ds_load_b32 v[vgprValuB_X9_I0+0], v[vgprLocalReadAddrB] offset:18432 // L -> Reg lro=4608 swapByteOffset=0 ti=64 vIdx=0 rIdx=0 oIdx=0 buffer=9 iui=0
v_mfma_f32_32x32x2_f32 a[176+0:191+0], v[vgprValuA_X0_I0+3+0+0], v[vgprValuB_X0_I0+2+0+0], a[176:191]
/*  mfmaIndex:12  */
/* localReadsVacancy: latencyLeft 13 */
_ds_load_b32 v[vgprValuA_X9_I0+1], v[vgprLocalReadAddrA] offset:18436 // L -> Reg lro=4608 swapByteOffset=0 ti=128 vIdx=0 rIdx=0 oIdx=0 buffer=9 iui=0
_ds_load_b32 v[vgprValuA_X9_I0+2], v[vgprLocalReadAddrA] offset:18944 // L -> Reg lro=4608 swapByteOffset=0 ti=128 vIdx=1 rIdx=0 oIdx=0 buffer=9 iui=0
	;; [unrolled: 1-line block ×3, first 2 shown]
_ds_load_b32 v[vgprValuB_X9_I0+1], v[vgprLocalReadAddrB] offset:18688 // L -> Reg lro=4608 swapByteOffset=0 ti=64 vIdx=1 rIdx=0 oIdx=0 buffer=9 iui=0
_ds_load_b32 v[vgprValuB_X9_I0+2], v[vgprLocalReadAddrB] offset:18944 // L -> Reg lro=4608 swapByteOffset=0 ti=64 vIdx=2 rIdx=0 oIdx=0 buffer=9 iui=0
	;; [unrolled: 1-line block ×3, first 2 shown]
v_mfma_f32_32x32x2_f32 a[240+0:255+0], v[vgprValuA_X0_I0+3+0+0], v[vgprValuB_X0_I0+3+0+0], a[240:255]
/*  mfmaIndex:13  */
/* localReadsVacancy: latencyLeft 13 */
_ds_load_b32 v[vgprValuA_X10_I0+0], v[vgprLocalReadAddrA] offset:20480 // L -> Reg lro=5120 swapByteOffset=0 ti=128 vIdx=0 rIdx=0 oIdx=0 buffer=10 iui=0
_ds_load_b32 v[vgprValuB_X10_I0+0], v[vgprLocalReadAddrB] offset:20480 // L -> Reg lro=5120 swapByteOffset=0 ti=64 vIdx=0 rIdx=0 oIdx=0 buffer=10 iui=0
_ds_load_b32 v[vgprValuA_X10_I0+1], v[vgprLocalReadAddrA] offset:20484 // L -> Reg lro=5120 swapByteOffset=0 ti=128 vIdx=0 rIdx=0 oIdx=0 buffer=10 iui=0
_ds_load_b32 v[vgprValuA_X10_I0+2], v[vgprLocalReadAddrA] offset:20992 // L -> Reg lro=5120 swapByteOffset=0 ti=128 vIdx=1 rIdx=0 oIdx=0 buffer=10 iui=0
	;; [unrolled: 1-line block ×3, first 2 shown]
_ds_load_b32 v[vgprValuB_X10_I0+1], v[vgprLocalReadAddrB] offset:20736 // L -> Reg lro=5120 swapByteOffset=0 ti=64 vIdx=1 rIdx=0 oIdx=0 buffer=10 iui=0
v_mfma_f32_32x32x2_f32 a[224+0:239+0], v[vgprValuA_X0_I0+2+0+0], v[vgprValuB_X0_I0+3+0+0], a[224:239]
/*  mfmaIndex:14  */
/* localReadsVacancy: latencyLeft 13 */
_ds_load_b32 v[vgprValuB_X10_I0+2], v[vgprLocalReadAddrB] offset:20992 // L -> Reg lro=5120 swapByteOffset=0 ti=64 vIdx=2 rIdx=0 oIdx=0 buffer=10 iui=0
_ds_load_b32 v[vgprValuB_X10_I0+3], v[vgprLocalReadAddrB] offset:21248 // L -> Reg lro=5120 swapByteOffset=0 ti=64 vIdx=3 rIdx=0 oIdx=0 buffer=10 iui=0
_ds_load_b32 v[vgprValuA_X11_I0+0], v[vgprLocalReadAddrA] offset:22528 // L -> Reg lro=5632 swapByteOffset=0 ti=128 vIdx=0 rIdx=0 oIdx=0 buffer=11 iui=0
_ds_load_b32 v[vgprValuB_X11_I0+0], v[vgprLocalReadAddrB] offset:22528 // L -> Reg lro=5632 swapByteOffset=0 ti=64 vIdx=0 rIdx=0 oIdx=0 buffer=11 iui=0
_ds_load_b32 v[vgprValuA_X11_I0+1], v[vgprLocalReadAddrA] offset:22532 // L -> Reg lro=5632 swapByteOffset=0 ti=128 vIdx=0 rIdx=0 oIdx=0 buffer=11 iui=0
_ds_load_b32 v[vgprValuA_X11_I0+2], v[vgprLocalReadAddrA] offset:23040 // L -> Reg lro=5632 swapByteOffset=0 ti=128 vIdx=1 rIdx=0 oIdx=0 buffer=11 iui=0
v_mfma_f32_32x32x2_f32 a[208+0:223+0], v[vgprValuA_X0_I0+1+0+0], v[vgprValuB_X0_I0+3+0+0], a[208:223]
/*  mfmaIndex:15  */
/* localReadsVacancy: latencyLeft 13 */
_ds_load_b32 v[vgprValuA_X11_I0+3], v[vgprLocalReadAddrA] offset:23044 // L -> Reg lro=5632 swapByteOffset=0 ti=128 vIdx=1 rIdx=0 oIdx=0 buffer=11 iui=0
_ds_load_b32 v[vgprValuB_X11_I0+1], v[vgprLocalReadAddrB] offset:22784 // L -> Reg lro=5632 swapByteOffset=0 ti=64 vIdx=1 rIdx=0 oIdx=0 buffer=11 iui=0
_ds_load_b32 v[vgprValuB_X11_I0+2], v[vgprLocalReadAddrB] offset:23040 // L -> Reg lro=5632 swapByteOffset=0 ti=64 vIdx=2 rIdx=0 oIdx=0 buffer=11 iui=0
	;; [unrolled: 1-line block ×3, first 2 shown]
_ds_load_b32 v[vgprValuA_X12_I0+0], v[vgprLocalReadAddrA] offset:24576 // L -> Reg lro=6144 swapByteOffset=0 ti=128 vIdx=0 rIdx=0 oIdx=0 buffer=12 iui=0
_ds_load_b32 v[vgprValuB_X12_I0+0], v[vgprLocalReadAddrB] offset:24576 // L -> Reg lro=6144 swapByteOffset=0 ti=64 vIdx=0 rIdx=0 oIdx=0 buffer=12 iui=0
v_mfma_f32_32x32x2_f32 a[192+0:207+0], v[vgprValuA_X0_I0+0+0+0], v[vgprValuB_X0_I0+3+0+0], a[192:207]
/* numPrefetchIter=0 */
/* dataAtIterA=-1 numReadsIterA=1 skipReadsIterA=1 readsPerIterA=4 */
/* dataAtIterB=-1 numReadsIterB=1 skipReadsIterB=1 readsPerIterB=4 */


/* iter 1 */

/*  grEndMfmaIndex:2, lwStartMfmaIndex:37, lwEndMfmaIndex:252  */
/*  numMfmaForLR:2, barrierMfmaIndex:253, LocalWritePerMfma:0.070 */
/*  mfmaIndex:16  */
/* localReadsVacancy: latencyLeft 13 */
_ds_load_b32 v[vgprValuA_X12_I0+1], v[vgprLocalReadAddrA] offset:24580 // L -> Reg lro=6144 swapByteOffset=0 ti=128 vIdx=0 rIdx=0 oIdx=0 buffer=12 iui=0
_ds_load_b32 v[vgprValuA_X12_I0+2], v[vgprLocalReadAddrA] offset:25088 // L -> Reg lro=6144 swapByteOffset=0 ti=128 vIdx=1 rIdx=0 oIdx=0 buffer=12 iui=0
	;; [unrolled: 1-line block ×3, first 2 shown]
_ds_load_b32 v[vgprValuB_X12_I0+1], v[vgprLocalReadAddrB] offset:24832 // L -> Reg lro=6144 swapByteOffset=0 ti=64 vIdx=1 rIdx=0 oIdx=0 buffer=12 iui=0
_ds_load_b32 v[vgprValuB_X12_I0+2], v[vgprLocalReadAddrB] offset:25088 // L -> Reg lro=6144 swapByteOffset=0 ti=64 vIdx=2 rIdx=0 oIdx=0 buffer=12 iui=0
	;; [unrolled: 1-line block ×3, first 2 shown]
s_waitcnt lgkmcnt(15)                              // lgkmcnt=0 vmcnt=-1wait for prior local read local write old=8, new=8 newLW=0 newLR=0
v_mfma_f32_32x32x2_f32 a[0+0:15+0], v[vgprValuA_X1_I0+0+0+0], v[vgprValuB_X1_I0+0+0+0], a[0:15]
/*  mfmaIndex:17  */
/* localReadsVacancy: latencyLeft 13 */
_ds_load_b32 v[vgprValuA_X13_I0+0], v[vgprLocalReadAddrA] offset:26624 // L -> Reg lro=6656 swapByteOffset=0 ti=128 vIdx=0 rIdx=0 oIdx=0 buffer=13 iui=0
_ds_load_b32 v[vgprValuB_X13_I0+0], v[vgprLocalReadAddrB] offset:26624 // L -> Reg lro=6656 swapByteOffset=0 ti=64 vIdx=0 rIdx=0 oIdx=0 buffer=13 iui=0
_ds_load_b32 v[vgprValuA_X13_I0+1], v[vgprLocalReadAddrA] offset:26628 // L -> Reg lro=6656 swapByteOffset=0 ti=128 vIdx=0 rIdx=0 oIdx=0 buffer=13 iui=0
_ds_load_b32 v[vgprValuA_X13_I0+2], v[vgprLocalReadAddrA] offset:27136 // L -> Reg lro=6656 swapByteOffset=0 ti=128 vIdx=1 rIdx=0 oIdx=0 buffer=13 iui=0
	;; [unrolled: 1-line block ×3, first 2 shown]
_ds_load_b32 v[vgprValuB_X13_I0+1], v[vgprLocalReadAddrB] offset:26880 // L -> Reg lro=6656 swapByteOffset=0 ti=64 vIdx=1 rIdx=0 oIdx=0 buffer=13 iui=0
v_mfma_f32_32x32x2_f32 a[16+0:31+0], v[vgprValuA_X1_I0+1+0+0], v[vgprValuB_X1_I0+0+0+0], a[16:31]
/*  mfmaIndex:18  */
/* localReadsVacancy: latencyLeft 13 */
_ds_load_b32 v[vgprValuB_X13_I0+2], v[vgprLocalReadAddrB] offset:27136 // L -> Reg lro=6656 swapByteOffset=0 ti=64 vIdx=2 rIdx=0 oIdx=0 buffer=13 iui=0
_ds_load_b32 v[vgprValuB_X13_I0+3], v[vgprLocalReadAddrB] offset:27392 // L -> Reg lro=6656 swapByteOffset=0 ti=64 vIdx=3 rIdx=0 oIdx=0 buffer=13 iui=0
_ds_load_b32 v[vgprValuA_X14_I0+0], v[vgprLocalReadAddrA] offset:28672 // L -> Reg lro=7168 swapByteOffset=0 ti=128 vIdx=0 rIdx=0 oIdx=0 buffer=14 iui=0
_ds_load_b32 v[vgprValuB_X14_I0+0], v[vgprLocalReadAddrB] offset:28672 // L -> Reg lro=7168 swapByteOffset=0 ti=64 vIdx=0 rIdx=0 oIdx=0 buffer=14 iui=0
_ds_load_b32 v[vgprValuA_X14_I0+1], v[vgprLocalReadAddrA] offset:28676 // L -> Reg lro=7168 swapByteOffset=0 ti=128 vIdx=0 rIdx=0 oIdx=0 buffer=14 iui=0
_ds_load_b32 v[vgprValuA_X14_I0+2], v[vgprLocalReadAddrA] offset:29184 // L -> Reg lro=7168 swapByteOffset=0 ti=128 vIdx=1 rIdx=0 oIdx=0 buffer=14 iui=0
v_mfma_f32_32x32x2_f32 a[32+0:47+0], v[vgprValuA_X1_I0+2+0+0], v[vgprValuB_X1_I0+0+0+0], a[32:47]
/*  mfmaIndex:19  */
/* localReadsVacancy: latencyLeft 13 */
_ds_load_b32 v[vgprValuA_X14_I0+3], v[vgprLocalReadAddrA] offset:29188 // L -> Reg lro=7168 swapByteOffset=0 ti=128 vIdx=1 rIdx=0 oIdx=0 buffer=14 iui=0
_ds_load_b32 v[vgprValuB_X14_I0+1], v[vgprLocalReadAddrB] offset:28928 // L -> Reg lro=7168 swapByteOffset=0 ti=64 vIdx=1 rIdx=0 oIdx=0 buffer=14 iui=0
_ds_load_b32 v[vgprValuB_X14_I0+2], v[vgprLocalReadAddrB] offset:29184 // L -> Reg lro=7168 swapByteOffset=0 ti=64 vIdx=2 rIdx=0 oIdx=0 buffer=14 iui=0
	;; [unrolled: 1-line block ×3, first 2 shown]
_ds_load_b32 v[vgprValuA_X15_I0+0], v[vgprLocalReadAddrA] offset:30720 // L -> Reg lro=7680 swapByteOffset=0 ti=128 vIdx=0 rIdx=0 oIdx=0 buffer=15 iui=0
_ds_load_b32 v[vgprValuB_X15_I0+0], v[vgprLocalReadAddrB] offset:30720 // L -> Reg lro=7680 swapByteOffset=0 ti=64 vIdx=0 rIdx=0 oIdx=0 buffer=15 iui=0
v_mfma_f32_32x32x2_f32 a[48+0:63+0], v[vgprValuA_X1_I0+3+0+0], v[vgprValuB_X1_I0+0+0+0], a[48:63]
/*  mfmaIndex:20  */
/* localReadsVacancy: latencyLeft 13 */
_ds_load_b32 v[vgprValuA_X15_I0+1], v[vgprLocalReadAddrA] offset:30724 // L -> Reg lro=7680 swapByteOffset=0 ti=128 vIdx=0 rIdx=0 oIdx=0 buffer=15 iui=0
_ds_load_b32 v[vgprValuA_X15_I0+2], v[vgprLocalReadAddrA] offset:31232 // L -> Reg lro=7680 swapByteOffset=0 ti=128 vIdx=1 rIdx=0 oIdx=0 buffer=15 iui=0
	;; [unrolled: 1-line block ×3, first 2 shown]
_ds_load_b32 v[vgprValuB_X15_I0+1], v[vgprLocalReadAddrB] offset:30976 // L -> Reg lro=7680 swapByteOffset=0 ti=64 vIdx=1 rIdx=0 oIdx=0 buffer=15 iui=0
_ds_load_b32 v[vgprValuB_X15_I0+2], v[vgprLocalReadAddrB] offset:31232 // L -> Reg lro=7680 swapByteOffset=0 ti=64 vIdx=2 rIdx=0 oIdx=0 buffer=15 iui=0
	;; [unrolled: 1-line block ×3, first 2 shown]
v_mfma_f32_32x32x2_f32 a[112+0:127+0], v[vgprValuA_X1_I0+3+0+0], v[vgprValuB_X1_I0+1+0+0], a[112:127]
/*  mfmaIndex:21  */
/* localReadsVacancy: latencyLeft 13 */
v_mfma_f32_32x32x2_f32 a[96+0:111+0], v[vgprValuA_X1_I0+2+0+0], v[vgprValuB_X1_I0+1+0+0], a[96:111]
/*  mfmaIndex:22  */
/* localReadsVacancy: latencyLeft 13 */
	;; [unrolled: 3-line block ×11, first 2 shown]
v_mfma_f32_32x32x2_f32 a[192+0:207+0], v[vgprValuA_X1_I0+0+0+0], v[vgprValuB_X1_I0+3+0+0], a[192:207]
/* numPrefetchIter=0 */
/* dataAtIterA=0 numReadsIterA=2 skipReadsIterA=1 readsPerIterA=4 */
/* dataAtIterB=0 numReadsIterB=2 skipReadsIterB=1 readsPerIterB=4 */


/* iter 2 */

/*  grEndMfmaIndex:2, lwStartMfmaIndex:37, lwEndMfmaIndex:252  */
/*  numMfmaForLR:2, barrierMfmaIndex:253, LocalWritePerMfma:0.070 */
/*  mfmaIndex:32  */
/* localReadsVacancy: latencyLeft 13 */
s_waitcnt lgkmcnt(15)                              // lgkmcnt=0 vmcnt=-1wait for prior local read local write old=0, new=0 newLW=0 newLR=0
v_mfma_f32_32x32x2_f32 a[0+0:15+0], v[vgprValuA_X2_I0+0+0+0], v[vgprValuB_X2_I0+0+0+0], a[0:15]
/*  mfmaIndex:33  */
/* localReadsVacancy: latencyLeft 13 */
v_mfma_f32_32x32x2_f32 a[16+0:31+0], v[vgprValuA_X2_I0+1+0+0], v[vgprValuB_X2_I0+0+0+0], a[16:31]
/*  mfmaIndex:34  */
/* localReadsVacancy: latencyLeft 13 */
	;; [unrolled: 3-line block ×4, first 2 shown]
/* 1 LDS buffer: read-sync-write */
s_waitcnt lgkmcnt(0)                               // 
s_barrier                                          // 
v_mfma_f32_32x32x2_f32 a[112+0:127+0], v[vgprValuA_X2_I0+3+0+0], v[vgprValuB_X2_I0+1+0+0], a[112:127]
/*  mfmaIndex:37  */
/* localReadsVacancy: latencyLeft 9 */
s_setprio 3                                        // store optimization
/* sched write - iter 2 writesPerItem=4 */
s_waitcnt vmcnt(0)                                 // lgkmcnt=-1 vmcnt=0wait for global read before writing to local
_ds_store_b32 v[vgprLocalWriteAddrA], v[vgprG2LA+0] offset:0 // lwoA_0_0_0_0 = (0 + 0*LSCA)*(MT0I+PAD) + (0*LSPA) = 0
_ds_store_b32 v[vgprLocalWriteAddrA], v[vgprG2LA+1] offset:1024 // lwoA_0_1_0_0 = (1 + 0*LSCA)*(MT0I+PAD) + (0*LSPA) = 1024
_ds_store_b32 v[vgprLocalWriteAddrA], v[vgprG2LA+2] offset:2048 // lwoA_0_2_0_0 = (2 + 0*LSCA)*(MT0I+PAD) + (0*LSPA) = 2048
_ds_store_b32 v[vgprLocalWriteAddrA], v[vgprG2LA+3] offset:3072 // lwoA_0_3_0_0 = (3 + 0*LSCA)*(MT0I+PAD) + (0*LSPA) = 3072
v_mfma_f32_32x32x2_f32 a[96+0:111+0], v[vgprValuA_X2_I0+2+0+0], v[vgprValuB_X2_I0+1+0+0], a[96:111]
/*  mfmaIndex:38  */
_buffer_load_b128 v[vgprG2LA+0:vgprG2LA+0+3], v[vgprGlobalReadOffsetA+0], s[sgprSrdA:sgprSrdA+3], 0, offen offset:0 // G -> Reg 0_0_0_0
v_mfma_f32_32x32x2_f32 a[80+0:95+0], v[vgprValuA_X2_I0+1+0+0], v[vgprValuB_X2_I0+1+0+0], a[80:95]
/*  mfmaIndex:39  */
v_mfma_f32_32x32x2_f32 a[64+0:79+0], v[vgprValuA_X2_I0+0+0+0], v[vgprValuB_X2_I0+1+0+0], a[64:79]
/*  mfmaIndex:40  */
	;; [unrolled: 2-line block ×9, first 2 shown]
v_mfma_f32_32x32x2_f32 a[192+0:207+0], v[vgprValuA_X2_I0+0+0+0], v[vgprValuB_X2_I0+3+0+0], a[192:207]
/* numPrefetchIter=0 */
/* dataAtIterA=1 numReadsIterA=3 skipReadsIterA=1 readsPerIterA=4 */
/* dataAtIterB=1 numReadsIterB=3 skipReadsIterB=1 readsPerIterB=4 */


/* iter 3 */

/*  grEndMfmaIndex:2, lwStartMfmaIndex:37, lwEndMfmaIndex:252  */
/*  numMfmaForLR:2, barrierMfmaIndex:253, LocalWritePerMfma:0.070 */
/*  mfmaIndex:48  */
v_mfma_f32_32x32x2_f32 a[0+0:15+0], v[vgprValuA_X3_I0+0+0+0], v[vgprValuB_X3_I0+0+0+0], a[0:15]
/*  mfmaIndex:49  */
v_mfma_f32_32x32x2_f32 a[16+0:31+0], v[vgprValuA_X3_I0+1+0+0], v[vgprValuB_X3_I0+0+0+0], a[16:31]
	;; [unrolled: 2-line block ×3, first 2 shown]
/*  mfmaIndex:51  */
/* sched write - iter 3 writesPerItem=4 */
s_waitcnt vmcnt(0)                                 // lgkmcnt=-1 vmcnt=0wait for global read before writing to local
_ds_store_b32 v[vgprLocalWriteAddrA], v[vgprG2LA+4] offset:128 // lwoA_0_0_1_0 = (0 + 0*LSCA)*(MT0I+PAD) + (1*LSPA) = 128
_ds_store_b32 v[vgprLocalWriteAddrA], v[vgprG2LA+5] offset:1152 // lwoA_0_1_1_0 = (1 + 0*LSCA)*(MT0I+PAD) + (1*LSPA) = 1152
_ds_store_b32 v[vgprLocalWriteAddrA], v[vgprG2LA+6] offset:2176 // lwoA_0_2_1_0 = (2 + 0*LSCA)*(MT0I+PAD) + (1*LSPA) = 2176
_ds_store_b32 v[vgprLocalWriteAddrA], v[vgprG2LA+7] offset:3200 // lwoA_0_3_1_0 = (3 + 0*LSCA)*(MT0I+PAD) + (1*LSPA) = 3200
v_mfma_f32_32x32x2_f32 a[48+0:63+0], v[vgprValuA_X3_I0+3+0+0], v[vgprValuB_X3_I0+0+0+0], a[48:63]
/*  mfmaIndex:52  */
_buffer_load_b128 v[vgprG2LA+4:vgprG2LA+4+3], v[vgprGlobalReadOffsetA+0], s[sgprSrdA:sgprSrdA+3], s[sgprScalarGlobalReadOffsetA+0], offen offset:0 // G -> Reg 0_0_1_0
v_mfma_f32_32x32x2_f32 a[112+0:127+0], v[vgprValuA_X3_I0+3+0+0], v[vgprValuB_X3_I0+1+0+0], a[112:127]
/*  mfmaIndex:53  */
v_mfma_f32_32x32x2_f32 a[96+0:111+0], v[vgprValuA_X3_I0+2+0+0], v[vgprValuB_X3_I0+1+0+0], a[96:111]
/*  mfmaIndex:54  */
	;; [unrolled: 2-line block ×11, first 2 shown]
v_mfma_f32_32x32x2_f32 a[192+0:207+0], v[vgprValuA_X3_I0+0+0+0], v[vgprValuB_X3_I0+3+0+0], a[192:207]


/* iter 4 */

/*  grEndMfmaIndex:2, lwStartMfmaIndex:37, lwEndMfmaIndex:252  */
/*  numMfmaForLR:2, barrierMfmaIndex:253, LocalWritePerMfma:0.070 */
/*  mfmaIndex:64  */
v_mfma_f32_32x32x2_f32 a[0+0:15+0], v[vgprValuA_X4_I0+0+0+0], v[vgprValuB_X4_I0+0+0+0], a[0:15]
/*  mfmaIndex:65  */
/* sched write - iter 4 writesPerItem=4 */
s_waitcnt vmcnt(0)                                 // lgkmcnt=-1 vmcnt=0wait for global read before writing to local
_ds_store_b32 v[vgprLocalWriteAddrA], v[vgprG2LA+8] offset:256 // lwoA_0_0_2_0 = (0 + 0*LSCA)*(MT0I+PAD) + (2*LSPA) = 256
_ds_store_b32 v[vgprLocalWriteAddrA], v[vgprG2LA+9] offset:1280 // lwoA_0_1_2_0 = (1 + 0*LSCA)*(MT0I+PAD) + (2*LSPA) = 1280
_ds_store_b32 v[vgprLocalWriteAddrA], v[vgprG2LA+10] offset:2304 // lwoA_0_2_2_0 = (2 + 0*LSCA)*(MT0I+PAD) + (2*LSPA) = 2304
_ds_store_b32 v[vgprLocalWriteAddrA], v[vgprG2LA+11] offset:3328 // lwoA_0_3_2_0 = (3 + 0*LSCA)*(MT0I+PAD) + (2*LSPA) = 3328
v_mfma_f32_32x32x2_f32 a[16+0:31+0], v[vgprValuA_X4_I0+1+0+0], v[vgprValuB_X4_I0+0+0+0], a[16:31]
/*  mfmaIndex:66  */
_buffer_load_b128 v[vgprG2LA+8:vgprG2LA+8+3], v[vgprGlobalReadOffsetA+0], s[sgprSrdA:sgprSrdA+3], s[sgprScalarGlobalReadOffsetA+1], offen offset:0 // G -> Reg 0_0_2_0
v_mfma_f32_32x32x2_f32 a[32+0:47+0], v[vgprValuA_X4_I0+2+0+0], v[vgprValuB_X4_I0+0+0+0], a[32:47]
/*  mfmaIndex:67  */
v_mfma_f32_32x32x2_f32 a[48+0:63+0], v[vgprValuA_X4_I0+3+0+0], v[vgprValuB_X4_I0+0+0+0], a[48:63]
/*  mfmaIndex:68  */
v_mfma_f32_32x32x2_f32 a[112+0:127+0], v[vgprValuA_X4_I0+3+0+0], v[vgprValuB_X4_I0+1+0+0], a[112:127]
/*  mfmaIndex:69  */
v_mfma_f32_32x32x2_f32 a[96+0:111+0], v[vgprValuA_X4_I0+2+0+0], v[vgprValuB_X4_I0+1+0+0], a[96:111]
/*  mfmaIndex:70  */
v_mfma_f32_32x32x2_f32 a[80+0:95+0], v[vgprValuA_X4_I0+1+0+0], v[vgprValuB_X4_I0+1+0+0], a[80:95]
/*  mfmaIndex:71  */
v_mfma_f32_32x32x2_f32 a[64+0:79+0], v[vgprValuA_X4_I0+0+0+0], v[vgprValuB_X4_I0+1+0+0], a[64:79]
/*  mfmaIndex:72  */
v_mfma_f32_32x32x2_f32 a[128+0:143+0], v[vgprValuA_X4_I0+0+0+0], v[vgprValuB_X4_I0+2+0+0], a[128:143]
/*  mfmaIndex:73  */
v_mfma_f32_32x32x2_f32 a[144+0:159+0], v[vgprValuA_X4_I0+1+0+0], v[vgprValuB_X4_I0+2+0+0], a[144:159]
/*  mfmaIndex:74  */
v_mfma_f32_32x32x2_f32 a[160+0:175+0], v[vgprValuA_X4_I0+2+0+0], v[vgprValuB_X4_I0+2+0+0], a[160:175]
/*  mfmaIndex:75  */
v_mfma_f32_32x32x2_f32 a[176+0:191+0], v[vgprValuA_X4_I0+3+0+0], v[vgprValuB_X4_I0+2+0+0], a[176:191]
/*  mfmaIndex:76  */
v_mfma_f32_32x32x2_f32 a[240+0:255+0], v[vgprValuA_X4_I0+3+0+0], v[vgprValuB_X4_I0+3+0+0], a[240:255]
/*  mfmaIndex:77  */
v_mfma_f32_32x32x2_f32 a[224+0:239+0], v[vgprValuA_X4_I0+2+0+0], v[vgprValuB_X4_I0+3+0+0], a[224:239]
/*  mfmaIndex:78  */
v_mfma_f32_32x32x2_f32 a[208+0:223+0], v[vgprValuA_X4_I0+1+0+0], v[vgprValuB_X4_I0+3+0+0], a[208:223]
/*  mfmaIndex:79  */
/* sched write - iter 4 writesPerItem=4 */
s_waitcnt vmcnt(0)                                 // lgkmcnt=-1 vmcnt=0wait for global read before writing to local
_ds_store_b32 v[vgprLocalWriteAddrA], v[vgprG2LA+12] offset:384 // lwoA_0_0_3_0 = (0 + 0*LSCA)*(MT0I+PAD) + (3*LSPA) = 384
_ds_store_b32 v[vgprLocalWriteAddrA], v[vgprG2LA+13] offset:1408 // lwoA_0_1_3_0 = (1 + 0*LSCA)*(MT0I+PAD) + (3*LSPA) = 1408
_ds_store_b32 v[vgprLocalWriteAddrA], v[vgprG2LA+14] offset:2432 // lwoA_0_2_3_0 = (2 + 0*LSCA)*(MT0I+PAD) + (3*LSPA) = 2432
_ds_store_b32 v[vgprLocalWriteAddrA], v[vgprG2LA+15] offset:3456 // lwoA_0_3_3_0 = (3 + 0*LSCA)*(MT0I+PAD) + (3*LSPA) = 3456
v_mfma_f32_32x32x2_f32 a[192+0:207+0], v[vgprValuA_X4_I0+0+0+0], v[vgprValuB_X4_I0+3+0+0], a[192:207]


/* iter 5 */

/*  grEndMfmaIndex:2, lwStartMfmaIndex:37, lwEndMfmaIndex:252  */
/*  numMfmaForLR:2, barrierMfmaIndex:253, LocalWritePerMfma:0.070 */
/*  mfmaIndex:80  */
_buffer_load_b128 v[vgprG2LA+12:vgprG2LA+12+3], v[vgprGlobalReadOffsetA+0], s[sgprSrdA:sgprSrdA+3], s[sgprScalarGlobalReadOffsetA+2], offen offset:0 // G -> Reg 0_0_3_0
v_mfma_f32_32x32x2_f32 a[0+0:15+0], v[vgprValuA_X5_I0+0+0+0], v[vgprValuB_X5_I0+0+0+0], a[0:15]
/*  mfmaIndex:81  */
v_mfma_f32_32x32x2_f32 a[16+0:31+0], v[vgprValuA_X5_I0+1+0+0], v[vgprValuB_X5_I0+0+0+0], a[16:31]
/*  mfmaIndex:82  */
	;; [unrolled: 2-line block ×14, first 2 shown]
/* sched write - iter 5 writesPerItem=4 */
s_waitcnt vmcnt(0)                                 // lgkmcnt=-1 vmcnt=0wait for global read before writing to local
_ds_store_b32 v[vgprLocalWriteAddrA], v[vgprG2LA+16] offset:512 // lwoA_0_0_4_0 = (0 + 0*LSCA)*(MT0I+PAD) + (4*LSPA) = 512
_ds_store_b32 v[vgprLocalWriteAddrA], v[vgprG2LA+17] offset:1536 // lwoA_0_1_4_0 = (1 + 0*LSCA)*(MT0I+PAD) + (4*LSPA) = 1536
_ds_store_b32 v[vgprLocalWriteAddrA], v[vgprG2LA+18] offset:2560 // lwoA_0_2_4_0 = (2 + 0*LSCA)*(MT0I+PAD) + (4*LSPA) = 2560
_ds_store_b32 v[vgprLocalWriteAddrA], v[vgprG2LA+19] offset:3584 // lwoA_0_3_4_0 = (3 + 0*LSCA)*(MT0I+PAD) + (4*LSPA) = 3584
v_mfma_f32_32x32x2_f32 a[208+0:223+0], v[vgprValuA_X5_I0+1+0+0], v[vgprValuB_X5_I0+3+0+0], a[208:223]
/*  mfmaIndex:95  */
_buffer_load_b128 v[vgprG2LA+16:vgprG2LA+16+3], v[vgprGlobalReadOffsetA+0], s[sgprSrdA:sgprSrdA+3], s[sgprScalarGlobalReadOffsetA+3], offen offset:0 // G -> Reg 0_0_4_0
v_mfma_f32_32x32x2_f32 a[192+0:207+0], v[vgprValuA_X5_I0+0+0+0], v[vgprValuB_X5_I0+3+0+0], a[192:207]


/* iter 6 */

/*  grEndMfmaIndex:2, lwStartMfmaIndex:37, lwEndMfmaIndex:252  */
/*  numMfmaForLR:2, barrierMfmaIndex:253, LocalWritePerMfma:0.070 */
/*  mfmaIndex:96  */
v_mfma_f32_32x32x2_f32 a[0+0:15+0], v[vgprValuA_X6_I0+0+0+0], v[vgprValuB_X6_I0+0+0+0], a[0:15]
/*  mfmaIndex:97  */
v_mfma_f32_32x32x2_f32 a[16+0:31+0], v[vgprValuA_X6_I0+1+0+0], v[vgprValuB_X6_I0+0+0+0], a[16:31]
	;; [unrolled: 2-line block ×12, first 2 shown]
/*  mfmaIndex:108  */
/* sched write - iter 6 writesPerItem=4 */
s_waitcnt vmcnt(0)                                 // lgkmcnt=-1 vmcnt=0wait for global read before writing to local
_ds_store_b32 v[vgprLocalWriteAddrA], v[vgprG2LA+20] offset:640 // lwoA_0_0_5_0 = (0 + 0*LSCA)*(MT0I+PAD) + (5*LSPA) = 640
_ds_store_b32 v[vgprLocalWriteAddrA], v[vgprG2LA+21] offset:1664 // lwoA_0_1_5_0 = (1 + 0*LSCA)*(MT0I+PAD) + (5*LSPA) = 1664
_ds_store_b32 v[vgprLocalWriteAddrA], v[vgprG2LA+22] offset:2688 // lwoA_0_2_5_0 = (2 + 0*LSCA)*(MT0I+PAD) + (5*LSPA) = 2688
_ds_store_b32 v[vgprLocalWriteAddrA], v[vgprG2LA+23] offset:3712 // lwoA_0_3_5_0 = (3 + 0*LSCA)*(MT0I+PAD) + (5*LSPA) = 3712
v_mfma_f32_32x32x2_f32 a[240+0:255+0], v[vgprValuA_X6_I0+3+0+0], v[vgprValuB_X6_I0+3+0+0], a[240:255]
/*  mfmaIndex:109  */
_buffer_load_b128 v[vgprG2LA+20:vgprG2LA+20+3], v[vgprGlobalReadOffsetA+0], s[sgprSrdA:sgprSrdA+3], s[sgprScalarGlobalReadOffsetA+4], offen offset:0 // G -> Reg 0_0_5_0
v_mfma_f32_32x32x2_f32 a[224+0:239+0], v[vgprValuA_X6_I0+2+0+0], v[vgprValuB_X6_I0+3+0+0], a[224:239]
/*  mfmaIndex:110  */
v_mfma_f32_32x32x2_f32 a[208+0:223+0], v[vgprValuA_X6_I0+1+0+0], v[vgprValuB_X6_I0+3+0+0], a[208:223]
/*  mfmaIndex:111  */
v_mfma_f32_32x32x2_f32 a[192+0:207+0], v[vgprValuA_X6_I0+0+0+0], v[vgprValuB_X6_I0+3+0+0], a[192:207]


/* iter 7 */

/*  grEndMfmaIndex:2, lwStartMfmaIndex:37, lwEndMfmaIndex:252  */
/*  numMfmaForLR:2, barrierMfmaIndex:253, LocalWritePerMfma:0.070 */
/*  mfmaIndex:112  */
v_mfma_f32_32x32x2_f32 a[0+0:15+0], v[vgprValuA_X7_I0+0+0+0], v[vgprValuB_X7_I0+0+0+0], a[0:15]
/*  mfmaIndex:113  */
v_mfma_f32_32x32x2_f32 a[16+0:31+0], v[vgprValuA_X7_I0+1+0+0], v[vgprValuB_X7_I0+0+0+0], a[16:31]
	;; [unrolled: 2-line block ×10, first 2 shown]
/*  mfmaIndex:122  */
/* sched write - iter 7 writesPerItem=4 */
s_waitcnt vmcnt(0)                                 // lgkmcnt=-1 vmcnt=0wait for global read before writing to local
_ds_store_b32 v[vgprLocalWriteAddrA], v[vgprG2LA+24] offset:768 // lwoA_0_0_6_0 = (0 + 0*LSCA)*(MT0I+PAD) + (6*LSPA) = 768
_ds_store_b32 v[vgprLocalWriteAddrA], v[vgprG2LA+25] offset:1792 // lwoA_0_1_6_0 = (1 + 0*LSCA)*(MT0I+PAD) + (6*LSPA) = 1792
_ds_store_b32 v[vgprLocalWriteAddrA], v[vgprG2LA+26] offset:2816 // lwoA_0_2_6_0 = (2 + 0*LSCA)*(MT0I+PAD) + (6*LSPA) = 2816
_ds_store_b32 v[vgprLocalWriteAddrA], v[vgprG2LA+27] offset:3840 // lwoA_0_3_6_0 = (3 + 0*LSCA)*(MT0I+PAD) + (6*LSPA) = 3840
v_mfma_f32_32x32x2_f32 a[160+0:175+0], v[vgprValuA_X7_I0+2+0+0], v[vgprValuB_X7_I0+2+0+0], a[160:175]
/*  mfmaIndex:123  */
_buffer_load_b128 v[vgprG2LA+24:vgprG2LA+24+3], v[vgprGlobalReadOffsetA+0], s[sgprSrdA:sgprSrdA+3], s[sgprScalarGlobalReadOffsetA+5], offen offset:0 // G -> Reg 0_0_6_0
v_mfma_f32_32x32x2_f32 a[176+0:191+0], v[vgprValuA_X7_I0+3+0+0], v[vgprValuB_X7_I0+2+0+0], a[176:191]
/*  mfmaIndex:124  */
v_mfma_f32_32x32x2_f32 a[240+0:255+0], v[vgprValuA_X7_I0+3+0+0], v[vgprValuB_X7_I0+3+0+0], a[240:255]
/*  mfmaIndex:125  */
	;; [unrolled: 2-line block ×4, first 2 shown]
v_mfma_f32_32x32x2_f32 a[192+0:207+0], v[vgprValuA_X7_I0+0+0+0], v[vgprValuB_X7_I0+3+0+0], a[192:207]


/* iter 8 */

/*  grEndMfmaIndex:2, lwStartMfmaIndex:37, lwEndMfmaIndex:252  */
/*  numMfmaForLR:2, barrierMfmaIndex:253, LocalWritePerMfma:0.070 */
/*  mfmaIndex:128  */
v_mfma_f32_32x32x2_f32 a[0+0:15+0], v[vgprValuA_X8_I0+0+0+0], v[vgprValuB_X8_I0+0+0+0], a[0:15]
/*  mfmaIndex:129  */
v_mfma_f32_32x32x2_f32 a[16+0:31+0], v[vgprValuA_X8_I0+1+0+0], v[vgprValuB_X8_I0+0+0+0], a[16:31]
	;; [unrolled: 2-line block ×9, first 2 shown]
/*  mfmaIndex:137  */
/* sched write - iter 8 writesPerItem=4 */
s_waitcnt vmcnt(0)                                 // lgkmcnt=-1 vmcnt=0wait for global read before writing to local
_ds_store_b32 v[vgprLocalWriteAddrA], v[vgprG2LA+28] offset:896 // lwoA_0_0_7_0 = (0 + 0*LSCA)*(MT0I+PAD) + (7*LSPA) = 896
_ds_store_b32 v[vgprLocalWriteAddrA], v[vgprG2LA+29] offset:1920 // lwoA_0_1_7_0 = (1 + 0*LSCA)*(MT0I+PAD) + (7*LSPA) = 1920
_ds_store_b32 v[vgprLocalWriteAddrA], v[vgprG2LA+30] offset:2944 // lwoA_0_2_7_0 = (2 + 0*LSCA)*(MT0I+PAD) + (7*LSPA) = 2944
_ds_store_b32 v[vgprLocalWriteAddrA], v[vgprG2LA+31] offset:3968 // lwoA_0_3_7_0 = (3 + 0*LSCA)*(MT0I+PAD) + (7*LSPA) = 3968
v_mfma_f32_32x32x2_f32 a[144+0:159+0], v[vgprValuA_X8_I0+1+0+0], v[vgprValuB_X8_I0+2+0+0], a[144:159]
/*  mfmaIndex:138  */
_buffer_load_b128 v[vgprG2LA+28:vgprG2LA+28+3], v[vgprGlobalReadOffsetA+0], s[sgprSrdA:sgprSrdA+3], s[sgprScalarGlobalReadOffsetA+6], offen offset:0 // G -> Reg 0_0_7_0
v_mfma_f32_32x32x2_f32 a[160+0:175+0], v[vgprValuA_X8_I0+2+0+0], v[vgprValuB_X8_I0+2+0+0], a[160:175]
/*  mfmaIndex:139  */
v_mfma_f32_32x32x2_f32 a[176+0:191+0], v[vgprValuA_X8_I0+3+0+0], v[vgprValuB_X8_I0+2+0+0], a[176:191]
/*  mfmaIndex:140  */
	;; [unrolled: 2-line block ×5, first 2 shown]
v_mfma_f32_32x32x2_f32 a[192+0:207+0], v[vgprValuA_X8_I0+0+0+0], v[vgprValuB_X8_I0+3+0+0], a[192:207]


/* iter 9 */

/*  grEndMfmaIndex:2, lwStartMfmaIndex:37, lwEndMfmaIndex:252  */
/*  numMfmaForLR:2, barrierMfmaIndex:253, LocalWritePerMfma:0.070 */
/*  mfmaIndex:144  */
v_mfma_f32_32x32x2_f32 a[0+0:15+0], v[vgprValuA_X9_I0+0+0+0], v[vgprValuB_X9_I0+0+0+0], a[0:15]
/*  mfmaIndex:145  */
v_mfma_f32_32x32x2_f32 a[16+0:31+0], v[vgprValuA_X9_I0+1+0+0], v[vgprValuB_X9_I0+0+0+0], a[16:31]
	;; [unrolled: 2-line block ×7, first 2 shown]
/*  mfmaIndex:151  */
/* sched write - iter 9 writesPerItem=4 */
s_waitcnt vmcnt(0)                                 // lgkmcnt=-1 vmcnt=0wait for global read before writing to local
_ds_store_b32 v[vgprLocalWriteAddrB], v[vgprG2LB+0] offset:0 // lwoB_0_0_0_0 = (0 + 0*LSCB)*(MT1J+PAD) + (0*LSPB) = 0
_ds_store_b32 v[vgprLocalWriteAddrB], v[vgprG2LB+1] offset:1024 // lwoB_0_1_0_0 = (1 + 0*LSCB)*(MT1J+PAD) + (0*LSPB) = 1024
_ds_store_b32 v[vgprLocalWriteAddrB], v[vgprG2LB+2] offset:2048 // lwoB_0_2_0_0 = (2 + 0*LSCB)*(MT1J+PAD) + (0*LSPB) = 2048
_ds_store_b32 v[vgprLocalWriteAddrB], v[vgprG2LB+3] offset:3072 // lwoB_0_3_0_0 = (3 + 0*LSCB)*(MT1J+PAD) + (0*LSPB) = 3072
v_mfma_f32_32x32x2_f32 a[64+0:79+0], v[vgprValuA_X9_I0+0+0+0], v[vgprValuB_X9_I0+1+0+0], a[64:79]
/*  mfmaIndex:152  */
_buffer_load_b128 v[vgprG2LB+0:vgprG2LB+0+3], v[vgprGlobalReadOffsetB+0], s[sgprSrdB:sgprSrdB+3], 0, offen offset:0 // G -> Reg 0_0_0_0
v_mfma_f32_32x32x2_f32 a[128+0:143+0], v[vgprValuA_X9_I0+0+0+0], v[vgprValuB_X9_I0+2+0+0], a[128:143]
/*  mfmaIndex:153  */
v_mfma_f32_32x32x2_f32 a[144+0:159+0], v[vgprValuA_X9_I0+1+0+0], v[vgprValuB_X9_I0+2+0+0], a[144:159]
/*  mfmaIndex:154  */
	;; [unrolled: 2-line block ×7, first 2 shown]
v_mfma_f32_32x32x2_f32 a[192+0:207+0], v[vgprValuA_X9_I0+0+0+0], v[vgprValuB_X9_I0+3+0+0], a[192:207]


/* iter 10 */

/*  grEndMfmaIndex:2, lwStartMfmaIndex:37, lwEndMfmaIndex:252  */
/*  numMfmaForLR:2, barrierMfmaIndex:253, LocalWritePerMfma:0.070 */
/*  mfmaIndex:160  */
v_mfma_f32_32x32x2_f32 a[0+0:15+0], v[vgprValuA_X10_I0+0+0+0], v[vgprValuB_X10_I0+0+0+0], a[0:15]
/*  mfmaIndex:161  */
v_mfma_f32_32x32x2_f32 a[16+0:31+0], v[vgprValuA_X10_I0+1+0+0], v[vgprValuB_X10_I0+0+0+0], a[16:31]
	;; [unrolled: 2-line block ×5, first 2 shown]
/*  mfmaIndex:165  */
/* sched write - iter 10 writesPerItem=4 */
s_waitcnt vmcnt(0)                                 // lgkmcnt=-1 vmcnt=0wait for global read before writing to local
_ds_store_b32 v[vgprLocalWriteAddrB], v[vgprG2LB+4] offset:128 // lwoB_0_0_1_0 = (0 + 0*LSCB)*(MT1J+PAD) + (1*LSPB) = 128
_ds_store_b32 v[vgprLocalWriteAddrB], v[vgprG2LB+5] offset:1152 // lwoB_0_1_1_0 = (1 + 0*LSCB)*(MT1J+PAD) + (1*LSPB) = 1152
_ds_store_b32 v[vgprLocalWriteAddrB], v[vgprG2LB+6] offset:2176 // lwoB_0_2_1_0 = (2 + 0*LSCB)*(MT1J+PAD) + (1*LSPB) = 2176
_ds_store_b32 v[vgprLocalWriteAddrB], v[vgprG2LB+7] offset:3200 // lwoB_0_3_1_0 = (3 + 0*LSCB)*(MT1J+PAD) + (1*LSPB) = 3200
v_mfma_f32_32x32x2_f32 a[96+0:111+0], v[vgprValuA_X10_I0+2+0+0], v[vgprValuB_X10_I0+1+0+0], a[96:111]
/*  mfmaIndex:166  */
_buffer_load_b128 v[vgprG2LB+4:vgprG2LB+4+3], v[vgprGlobalReadOffsetB+0], s[sgprSrdB:sgprSrdB+3], s[sgprScalarGlobalReadOffsetB+0], offen offset:0 // G -> Reg 0_0_1_0
v_mfma_f32_32x32x2_f32 a[80+0:95+0], v[vgprValuA_X10_I0+1+0+0], v[vgprValuB_X10_I0+1+0+0], a[80:95]
/*  mfmaIndex:167  */
v_mfma_f32_32x32x2_f32 a[64+0:79+0], v[vgprValuA_X10_I0+0+0+0], v[vgprValuB_X10_I0+1+0+0], a[64:79]
/*  mfmaIndex:168  */
	;; [unrolled: 2-line block ×9, first 2 shown]
v_mfma_f32_32x32x2_f32 a[192+0:207+0], v[vgprValuA_X10_I0+0+0+0], v[vgprValuB_X10_I0+3+0+0], a[192:207]


/* iter 11 */

/*  grEndMfmaIndex:2, lwStartMfmaIndex:37, lwEndMfmaIndex:252  */
/*  numMfmaForLR:2, barrierMfmaIndex:253, LocalWritePerMfma:0.070 */
/*  mfmaIndex:176  */
v_mfma_f32_32x32x2_f32 a[0+0:15+0], v[vgprValuA_X11_I0+0+0+0], v[vgprValuB_X11_I0+0+0+0], a[0:15]
/*  mfmaIndex:177  */
v_mfma_f32_32x32x2_f32 a[16+0:31+0], v[vgprValuA_X11_I0+1+0+0], v[vgprValuB_X11_I0+0+0+0], a[16:31]
	;; [unrolled: 2-line block ×3, first 2 shown]
/*  mfmaIndex:179  */
/* sched write - iter 11 writesPerItem=4 */
s_waitcnt vmcnt(0)                                 // lgkmcnt=-1 vmcnt=0wait for global read before writing to local
_ds_store_b32 v[vgprLocalWriteAddrB], v[vgprG2LB+8] offset:256 // lwoB_0_0_2_0 = (0 + 0*LSCB)*(MT1J+PAD) + (2*LSPB) = 256
_ds_store_b32 v[vgprLocalWriteAddrB], v[vgprG2LB+9] offset:1280 // lwoB_0_1_2_0 = (1 + 0*LSCB)*(MT1J+PAD) + (2*LSPB) = 1280
_ds_store_b32 v[vgprLocalWriteAddrB], v[vgprG2LB+10] offset:2304 // lwoB_0_2_2_0 = (2 + 0*LSCB)*(MT1J+PAD) + (2*LSPB) = 2304
_ds_store_b32 v[vgprLocalWriteAddrB], v[vgprG2LB+11] offset:3328 // lwoB_0_3_2_0 = (3 + 0*LSCB)*(MT1J+PAD) + (2*LSPB) = 3328
v_mfma_f32_32x32x2_f32 a[48+0:63+0], v[vgprValuA_X11_I0+3+0+0], v[vgprValuB_X11_I0+0+0+0], a[48:63]
/*  mfmaIndex:180  */
_buffer_load_b128 v[vgprG2LB+8:vgprG2LB+8+3], v[vgprGlobalReadOffsetB+0], s[sgprSrdB:sgprSrdB+3], s[sgprScalarGlobalReadOffsetB+1], offen offset:0 // G -> Reg 0_0_2_0
v_mfma_f32_32x32x2_f32 a[112+0:127+0], v[vgprValuA_X11_I0+3+0+0], v[vgprValuB_X11_I0+1+0+0], a[112:127]
/*  mfmaIndex:181  */
v_mfma_f32_32x32x2_f32 a[96+0:111+0], v[vgprValuA_X11_I0+2+0+0], v[vgprValuB_X11_I0+1+0+0], a[96:111]
/*  mfmaIndex:182  */
	;; [unrolled: 2-line block ×11, first 2 shown]
v_mfma_f32_32x32x2_f32 a[192+0:207+0], v[vgprValuA_X11_I0+0+0+0], v[vgprValuB_X11_I0+3+0+0], a[192:207]


/* iter 12 */

/*  grEndMfmaIndex:2, lwStartMfmaIndex:37, lwEndMfmaIndex:252  */
/*  numMfmaForLR:2, barrierMfmaIndex:253, LocalWritePerMfma:0.070 */
/*  mfmaIndex:192  */
v_mfma_f32_32x32x2_f32 a[0+0:15+0], v[vgprValuA_X12_I0+0+0+0], v[vgprValuB_X12_I0+0+0+0], a[0:15]
/*  mfmaIndex:193  */
v_mfma_f32_32x32x2_f32 a[16+0:31+0], v[vgprValuA_X12_I0+1+0+0], v[vgprValuB_X12_I0+0+0+0], a[16:31]
/*  mfmaIndex:194  */
/* sched write - iter 12 writesPerItem=4 */
s_waitcnt vmcnt(0)                                 // lgkmcnt=-1 vmcnt=0wait for global read before writing to local
_ds_store_b32 v[vgprLocalWriteAddrB], v[vgprG2LB+12] offset:384 // lwoB_0_0_3_0 = (0 + 0*LSCB)*(MT1J+PAD) + (3*LSPB) = 384
_ds_store_b32 v[vgprLocalWriteAddrB], v[vgprG2LB+13] offset:1408 // lwoB_0_1_3_0 = (1 + 0*LSCB)*(MT1J+PAD) + (3*LSPB) = 1408
_ds_store_b32 v[vgprLocalWriteAddrB], v[vgprG2LB+14] offset:2432 // lwoB_0_2_3_0 = (2 + 0*LSCB)*(MT1J+PAD) + (3*LSPB) = 2432
_ds_store_b32 v[vgprLocalWriteAddrB], v[vgprG2LB+15] offset:3456 // lwoB_0_3_3_0 = (3 + 0*LSCB)*(MT1J+PAD) + (3*LSPB) = 3456
v_mfma_f32_32x32x2_f32 a[32+0:47+0], v[vgprValuA_X12_I0+2+0+0], v[vgprValuB_X12_I0+0+0+0], a[32:47]
/*  mfmaIndex:195  */
_buffer_load_b128 v[vgprG2LB+12:vgprG2LB+12+3], v[vgprGlobalReadOffsetB+0], s[sgprSrdB:sgprSrdB+3], s[sgprScalarGlobalReadOffsetB+2], offen offset:0 // G -> Reg 0_0_3_0
v_mfma_f32_32x32x2_f32 a[48+0:63+0], v[vgprValuA_X12_I0+3+0+0], v[vgprValuB_X12_I0+0+0+0], a[48:63]
/*  mfmaIndex:196  */
v_mfma_f32_32x32x2_f32 a[112+0:127+0], v[vgprValuA_X12_I0+3+0+0], v[vgprValuB_X12_I0+1+0+0], a[112:127]
/*  mfmaIndex:197  */
	;; [unrolled: 2-line block ×12, first 2 shown]
v_mfma_f32_32x32x2_f32 a[192+0:207+0], v[vgprValuA_X12_I0+0+0+0], v[vgprValuB_X12_I0+3+0+0], a[192:207]


/* iter 13 */

/*  grEndMfmaIndex:2, lwStartMfmaIndex:37, lwEndMfmaIndex:252  */
/*  numMfmaForLR:2, barrierMfmaIndex:253, LocalWritePerMfma:0.070 */
/*  mfmaIndex:208  */
/* sched write - iter 13 writesPerItem=4 */
s_waitcnt vmcnt(0)                                 // lgkmcnt=-1 vmcnt=0wait for global read before writing to local
_ds_store_b32 v[vgprLocalWriteAddrB], v[vgprG2LB+16] offset:512 // lwoB_0_0_4_0 = (0 + 0*LSCB)*(MT1J+PAD) + (4*LSPB) = 512
_ds_store_b32 v[vgprLocalWriteAddrB], v[vgprG2LB+17] offset:1536 // lwoB_0_1_4_0 = (1 + 0*LSCB)*(MT1J+PAD) + (4*LSPB) = 1536
_ds_store_b32 v[vgprLocalWriteAddrB], v[vgprG2LB+18] offset:2560 // lwoB_0_2_4_0 = (2 + 0*LSCB)*(MT1J+PAD) + (4*LSPB) = 2560
_ds_store_b32 v[vgprLocalWriteAddrB], v[vgprG2LB+19] offset:3584 // lwoB_0_3_4_0 = (3 + 0*LSCB)*(MT1J+PAD) + (4*LSPB) = 3584
v_mfma_f32_32x32x2_f32 a[0+0:15+0], v[vgprValuA_X13_I0+0+0+0], v[vgprValuB_X13_I0+0+0+0], a[0:15]
/*  mfmaIndex:209  */
_buffer_load_b128 v[vgprG2LB+16:vgprG2LB+16+3], v[vgprGlobalReadOffsetB+0], s[sgprSrdB:sgprSrdB+3], s[sgprScalarGlobalReadOffsetB+3], offen offset:0 // G -> Reg 0_0_4_0
v_mfma_f32_32x32x2_f32 a[16+0:31+0], v[vgprValuA_X13_I0+1+0+0], v[vgprValuB_X13_I0+0+0+0], a[16:31]
/*  mfmaIndex:210  */
v_mfma_f32_32x32x2_f32 a[32+0:47+0], v[vgprValuA_X13_I0+2+0+0], v[vgprValuB_X13_I0+0+0+0], a[32:47]
/*  mfmaIndex:211  */
	;; [unrolled: 2-line block ×13, first 2 shown]
/* sched write - iter 13 writesPerItem=4 */
s_waitcnt vmcnt(0)                                 // lgkmcnt=-1 vmcnt=0wait for global read before writing to local
_ds_store_b32 v[vgprLocalWriteAddrB], v[vgprG2LB+20] offset:640 // lwoB_0_0_5_0 = (0 + 0*LSCB)*(MT1J+PAD) + (5*LSPB) = 640
_ds_store_b32 v[vgprLocalWriteAddrB], v[vgprG2LB+21] offset:1664 // lwoB_0_1_5_0 = (1 + 0*LSCB)*(MT1J+PAD) + (5*LSPB) = 1664
_ds_store_b32 v[vgprLocalWriteAddrB], v[vgprG2LB+22] offset:2688 // lwoB_0_2_5_0 = (2 + 0*LSCB)*(MT1J+PAD) + (5*LSPB) = 2688
_ds_store_b32 v[vgprLocalWriteAddrB], v[vgprG2LB+23] offset:3712 // lwoB_0_3_5_0 = (3 + 0*LSCB)*(MT1J+PAD) + (5*LSPB) = 3712
v_mfma_f32_32x32x2_f32 a[208+0:223+0], v[vgprValuA_X13_I0+1+0+0], v[vgprValuB_X13_I0+3+0+0], a[208:223]
/*  mfmaIndex:223  */
_buffer_load_b128 v[vgprG2LB+20:vgprG2LB+20+3], v[vgprGlobalReadOffsetB+0], s[sgprSrdB:sgprSrdB+3], s[sgprScalarGlobalReadOffsetB+4], offen offset:0 // G -> Reg 0_0_5_0
v_mfma_f32_32x32x2_f32 a[192+0:207+0], v[vgprValuA_X13_I0+0+0+0], v[vgprValuB_X13_I0+3+0+0], a[192:207]


/* iter 14 (reset local read pointers iteration)  (swap local read pointers iteration)  */

/*  grEndMfmaIndex:2, lwStartMfmaIndex:37, lwEndMfmaIndex:252  */
/*  numMfmaForLR:2, barrierMfmaIndex:253, LocalWritePerMfma:0.070 */
/*  mfmaIndex:224  */
v_mfma_f32_32x32x2_f32 a[0+0:15+0], v[vgprValuA_X14_I0+0+0+0], v[vgprValuB_X14_I0+0+0+0], a[0:15]
/*  mfmaIndex:225  */
v_mfma_f32_32x32x2_f32 a[16+0:31+0], v[vgprValuA_X14_I0+1+0+0], v[vgprValuB_X14_I0+0+0+0], a[16:31]
	;; [unrolled: 2-line block ×13, first 2 shown]
/*  mfmaIndex:237  */
/* sched write - iter 14 writesPerItem=4 */
s_waitcnt vmcnt(0)                                 // lgkmcnt=-1 vmcnt=0wait for global read before writing to local
_ds_store_b32 v[vgprLocalWriteAddrB], v[vgprG2LB+24] offset:768 // lwoB_0_0_6_0 = (0 + 0*LSCB)*(MT1J+PAD) + (6*LSPB) = 768
_ds_store_b32 v[vgprLocalWriteAddrB], v[vgprG2LB+25] offset:1792 // lwoB_0_1_6_0 = (1 + 0*LSCB)*(MT1J+PAD) + (6*LSPB) = 1792
_ds_store_b32 v[vgprLocalWriteAddrB], v[vgprG2LB+26] offset:2816 // lwoB_0_2_6_0 = (2 + 0*LSCB)*(MT1J+PAD) + (6*LSPB) = 2816
_ds_store_b32 v[vgprLocalWriteAddrB], v[vgprG2LB+27] offset:3840 // lwoB_0_3_6_0 = (3 + 0*LSCB)*(MT1J+PAD) + (6*LSPB) = 3840
v_mfma_f32_32x32x2_f32 a[224+0:239+0], v[vgprValuA_X14_I0+2+0+0], v[vgprValuB_X14_I0+3+0+0], a[224:239]
/*  mfmaIndex:238  */
_buffer_load_b128 v[vgprG2LB+24:vgprG2LB+24+3], v[vgprGlobalReadOffsetB+0], s[sgprSrdB:sgprSrdB+3], s[sgprScalarGlobalReadOffsetB+5], offen offset:0 // G -> Reg 0_0_6_0
v_mfma_f32_32x32x2_f32 a[208+0:223+0], v[vgprValuA_X14_I0+1+0+0], v[vgprValuB_X14_I0+3+0+0], a[208:223]
/*  mfmaIndex:239  */

/* local read swap offsets a */

/* local read swap offsets b */

/* local read init pointers a */

/* localReadInitPointers */

/* local read init pointers b */

/* localReadInitPointers */
v_mfma_f32_32x32x2_f32 a[192+0:207+0], v[vgprValuA_X14_I0+0+0+0], v[vgprValuB_X14_I0+3+0+0], a[192:207]


/* iter 15 (swap and reset local write pointers iteration)  */

/*  grEndMfmaIndex:2, lwStartMfmaIndex:37, lwEndMfmaIndex:252  */
/*  numMfmaForLR:2, barrierMfmaIndex:253, LocalWritePerMfma:0.070 */
/*  mfmaIndex:240  */
v_mfma_f32_32x32x2_f32 a[0+0:15+0], v[vgprValuA_X15_I0+0+0+0], v[vgprValuB_X15_I0+0+0+0], a[0:15]
/*  mfmaIndex:241  */
v_mfma_f32_32x32x2_f32 a[16+0:31+0], v[vgprValuA_X15_I0+1+0+0], v[vgprValuB_X15_I0+0+0+0], a[16:31]
	;; [unrolled: 2-line block ×11, first 2 shown]
/*  mfmaIndex:251  */
/* sched write - iter 15 writesPerItem=4 */
s_waitcnt vmcnt(0)                                 // lgkmcnt=-1 vmcnt=0wait for global read before writing to local
_ds_store_b32 v[vgprLocalWriteAddrB], v[vgprG2LB+28] offset:896 // lwoB_0_0_7_0 = (0 + 0*LSCB)*(MT1J+PAD) + (7*LSPB) = 896
_ds_store_b32 v[vgprLocalWriteAddrB], v[vgprG2LB+29] offset:1920 // lwoB_0_1_7_0 = (1 + 0*LSCB)*(MT1J+PAD) + (7*LSPB) = 1920
_ds_store_b32 v[vgprLocalWriteAddrB], v[vgprG2LB+30] offset:2944 // lwoB_0_2_7_0 = (2 + 0*LSCB)*(MT1J+PAD) + (7*LSPB) = 2944
_ds_store_b32 v[vgprLocalWriteAddrB], v[vgprG2LB+31] offset:3968 // lwoB_0_3_7_0 = (3 + 0*LSCB)*(MT1J+PAD) + (7*LSPB) = 3968
v_mfma_f32_32x32x2_f32 a[176+0:191+0], v[vgprValuA_X15_I0+3+0+0], v[vgprValuB_X15_I0+2+0+0], a[176:191]
/*  mfmaIndex:252  */
_buffer_load_b128 v[vgprG2LB+28:vgprG2LB+28+3], v[vgprGlobalReadOffsetB+0], s[sgprSrdB:sgprSrdB+3], s[sgprScalarGlobalReadOffsetB+6], offen offset:0 // G -> Reg 0_0_7_0

/* local write swap offsets a */

/* local write swap offsets b */
v_mfma_f32_32x32x2_f32 a[240+0:255+0], v[vgprValuA_X15_I0+3+0+0], v[vgprValuB_X15_I0+3+0+0], a[240:255]
s_setprio 0                                        // store optimization
/*  mfmaIndex:253  */
s_waitcnt lgkmcnt(0)                               // lgkmcnt=0 vmcnt=-13wait for local write
// Skip force waitcnt0
s_barrier //
v_mfma_f32_32x32x2_f32 a[224+0:239+0], v[vgprValuA_X15_I0+2+0+0], v[vgprValuB_X15_I0+3+0+0], a[224:239]
/*  mfmaIndex:254  */
s_setprio 3                                        // store optimization
_ds_load_b32 v[vgprValuA_X0_I0+0], v[vgprLocalReadAddrA] offset:0 // L -> Reg lro=0 swapByteOffset=0 ti=128 vIdx=0 rIdx=0 oIdx=0 buffer=0 iui=0
_ds_load_b32 v[vgprValuB_X0_I0+0], v[vgprLocalReadAddrB] offset:0 // L -> Reg lro=0 swapByteOffset=0 ti=64 vIdx=0 rIdx=0 oIdx=0 buffer=0 iui=0
_ds_load_b32 v[vgprValuA_X0_I0+1], v[vgprLocalReadAddrA] offset:4 // L -> Reg lro=0 swapByteOffset=0 ti=128 vIdx=0 rIdx=0 oIdx=0 buffer=0 iui=0
_ds_load_b32 v[vgprValuA_X0_I0+2], v[vgprLocalReadAddrA] offset:512 // L -> Reg lro=0 swapByteOffset=0 ti=128 vIdx=1 rIdx=0 oIdx=0 buffer=0 iui=0
	;; [unrolled: 1-line block ×3, first 2 shown]
_ds_load_b32 v[vgprValuB_X0_I0+1], v[vgprLocalReadAddrB] offset:256 // L -> Reg lro=0 swapByteOffset=0 ti=64 vIdx=1 rIdx=0 oIdx=0 buffer=0 iui=0
v_mfma_f32_32x32x2_f32 a[208+0:223+0], v[vgprValuA_X15_I0+1+0+0], v[vgprValuB_X15_I0+3+0+0], a[208:223]
/*  mfmaIndex:255  */
_ds_load_b32 v[vgprValuB_X0_I0+2], v[vgprLocalReadAddrB] offset:512 // L -> Reg lro=0 swapByteOffset=0 ti=64 vIdx=2 rIdx=0 oIdx=0 buffer=0 iui=0
_ds_load_b32 v[vgprValuB_X0_I0+3], v[vgprLocalReadAddrB] offset:768 // L -> Reg lro=0 swapByteOffset=0 ti=64 vIdx=3 rIdx=0 oIdx=0 buffer=0 iui=0
v_mfma_f32_32x32x2_f32 a[192+0:207+0], v[vgprValuA_X15_I0+0+0+0], v[vgprValuB_X15_I0+3+0+0], a[192:207]
s_setprio 0                                        // store optimization


/******************************************/
/* Unrolled Loop - End 1/2                */
/******************************************/


/* closeLoop loopL finalLoop=0 tailLoop=0 */
s_sub_u32 s[sgprLoopCounterL], s[sgprLoopCounterL], 1 // dec counterL
s_cmp_eq_i32 s[sgprLoopCounterL], 0x2              // counterL==2
s_cbranch_scc1 LoopEndL_oddexit_3                  // exit LoopL


/******************************************/
/* Unrolled Loop 2/2 - Begin              */
/******************************************/

label_0016: // LoopCopy2 


/* Begin Each Unroll: Check VGPR.checkin for INT8 LW */


	;; [unrolled: 1-line block ×3, first 2 shown]
/* iter 0 */

/*  grEndMfmaIndex:2, lwStartMfmaIndex:37, lwEndMfmaIndex:252  */
/*  numMfmaForLR:2, barrierMfmaIndex:253, LocalWritePerMfma:0.070 */
/*  mfmaIndex:0  */
s_waitcnt lgkmcnt(0)                               // lgkmcnt=0 vmcnt=-1wait for prior local read local write old=0, new=0 newLW=0 newLR=0
v_mfma_f32_32x32x2_f32 a[0+0:15+0], v[vgprValuA_X0_I0+0+0+0], v[vgprValuB_X0_I0+0+0+0], a[0:15]
/*  mfmaIndex:1  */
_ds_load_b32 v[vgprValuA_X1_I0+0], v[vgprLocalReadAddrA] offset:2048 // L -> Reg lro=512 swapByteOffset=0 ti=128 vIdx=0 rIdx=0 oIdx=0 buffer=1 iui=0
_ds_load_b32 v[vgprValuB_X1_I0+0], v[vgprLocalReadAddrB] offset:2048 // L -> Reg lro=512 swapByteOffset=0 ti=64 vIdx=0 rIdx=0 oIdx=0 buffer=1 iui=0
_ds_load_b32 v[vgprValuA_X1_I0+1], v[vgprLocalReadAddrA] offset:2052 // L -> Reg lro=512 swapByteOffset=0 ti=128 vIdx=0 rIdx=0 oIdx=0 buffer=1 iui=0
_ds_load_b32 v[vgprValuA_X1_I0+2], v[vgprLocalReadAddrA] offset:2560 // L -> Reg lro=512 swapByteOffset=0 ti=128 vIdx=1 rIdx=0 oIdx=0 buffer=1 iui=0
_ds_load_b32 v[vgprValuA_X1_I0+3], v[vgprLocalReadAddrA] offset:2564 // L -> Reg lro=512 swapByteOffset=0 ti=128 vIdx=1 rIdx=0 oIdx=0 buffer=1 iui=0
_ds_load_b32 v[vgprValuB_X1_I0+1], v[vgprLocalReadAddrB] offset:2304 // L -> Reg lro=512 swapByteOffset=0 ti=64 vIdx=1 rIdx=0 oIdx=0 buffer=1 iui=0

/* global read inc A loopL */
s_add_u32 s[sgprSrdA+0], s[sgprSrdA+0], s[sgprGlobalReadIncsA+0] // gra SRD += inc(lower)
s_addc_u32  s[sgprSrdA+1], s[sgprSrdA+1], 0        // gra SRD += inc(upper)
s_sub_u32 s[sgprShadowLimitA+0], s[sgprShadowLimitA+0], s[sgprGlobalReadIncsA+0] // limit -= inc)
s_subb_u32 s[sgprShadowLimitA+1], s[sgprShadowLimitA+1], 0 // limit -= inc)
s_cmp_eq_u32 s[sgprShadowLimitA+1], 0              // are we within 2^32?
s_cmov_b32 s[sgprSrdA+2], s[sgprShadowLimitA+0]    // Move shadow to real if we are within 2^32

/* global read inc B loopL */
s_add_u32 s[sgprSrdB+0], s[sgprSrdB+0], s[sgprGlobalReadIncsB+0] // gra SRD += inc(lower)
v_mfma_f32_32x32x2_f32 a[16+0:31+0], v[vgprValuA_X0_I0+1+0+0], v[vgprValuB_X0_I0+0+0+0], a[16:31]
/*  mfmaIndex:2  */
_ds_load_b32 v[vgprValuB_X1_I0+2], v[vgprLocalReadAddrB] offset:2560 // L -> Reg lro=512 swapByteOffset=0 ti=64 vIdx=2 rIdx=0 oIdx=0 buffer=1 iui=0
_ds_load_b32 v[vgprValuB_X1_I0+3], v[vgprLocalReadAddrB] offset:2816 // L -> Reg lro=512 swapByteOffset=0 ti=64 vIdx=3 rIdx=0 oIdx=0 buffer=1 iui=0
/* localReadsVacancy: latencyLeft 9 */
_ds_load_b32 v[vgprValuA_X2_I0+0], v[vgprLocalReadAddrA] offset:4096 // L -> Reg lro=1024 swapByteOffset=0 ti=128 vIdx=0 rIdx=0 oIdx=0 buffer=2 iui=0
_ds_load_b32 v[vgprValuB_X2_I0+0], v[vgprLocalReadAddrB] offset:4096 // L -> Reg lro=1024 swapByteOffset=0 ti=64 vIdx=0 rIdx=0 oIdx=0 buffer=2 iui=0
_ds_load_b32 v[vgprValuA_X2_I0+1], v[vgprLocalReadAddrA] offset:4100 // L -> Reg lro=1024 swapByteOffset=0 ti=128 vIdx=0 rIdx=0 oIdx=0 buffer=2 iui=0
_ds_load_b32 v[vgprValuA_X2_I0+2], v[vgprLocalReadAddrA] offset:4608 // L -> Reg lro=1024 swapByteOffset=0 ti=128 vIdx=1 rIdx=0 oIdx=0 buffer=2 iui=0
s_addc_u32  s[sgprSrdB+1], s[sgprSrdB+1], 0        // gra SRD += inc(upper)
s_sub_u32 s[sgprShadowLimitB+0], s[sgprShadowLimitB+0], s[sgprGlobalReadIncsB+0] // limit -= inc)
s_subb_u32 s[sgprShadowLimitB+1], s[sgprShadowLimitB+1], 0 // limit -= inc)
s_cmp_eq_u32 s[sgprShadowLimitB+1], 0              // are we within 2^32?
s_cmov_b32 s[sgprSrdB+2], s[sgprShadowLimitB+0]    // Move shadow to real if we are within 2^32
v_mfma_f32_32x32x2_f32 a[32+0:47+0], v[vgprValuA_X0_I0+2+0+0], v[vgprValuB_X0_I0+0+0+0], a[32:47]
/*  mfmaIndex:3  */
/* localReadsVacancy: latencyLeft 13 */
_ds_load_b32 v[vgprValuA_X2_I0+3], v[vgprLocalReadAddrA] offset:4612 // L -> Reg lro=1024 swapByteOffset=0 ti=128 vIdx=1 rIdx=0 oIdx=0 buffer=2 iui=0
_ds_load_b32 v[vgprValuB_X2_I0+1], v[vgprLocalReadAddrB] offset:4352 // L -> Reg lro=1024 swapByteOffset=0 ti=64 vIdx=1 rIdx=0 oIdx=0 buffer=2 iui=0
_ds_load_b32 v[vgprValuB_X2_I0+2], v[vgprLocalReadAddrB] offset:4608 // L -> Reg lro=1024 swapByteOffset=0 ti=64 vIdx=2 rIdx=0 oIdx=0 buffer=2 iui=0
	;; [unrolled: 1-line block ×3, first 2 shown]
_ds_load_b32 v[vgprValuA_X3_I0+0], v[vgprLocalReadAddrA] offset:6144 // L -> Reg lro=1536 swapByteOffset=0 ti=128 vIdx=0 rIdx=0 oIdx=0 buffer=3 iui=0
_ds_load_b32 v[vgprValuB_X3_I0+0], v[vgprLocalReadAddrB] offset:6144 // L -> Reg lro=1536 swapByteOffset=0 ti=64 vIdx=0 rIdx=0 oIdx=0 buffer=3 iui=0
v_mfma_f32_32x32x2_f32 a[48+0:63+0], v[vgprValuA_X0_I0+3+0+0], v[vgprValuB_X0_I0+0+0+0], a[48:63]
/*  mfmaIndex:4  */
/* localReadsVacancy: latencyLeft 13 */
_ds_load_b32 v[vgprValuA_X3_I0+1], v[vgprLocalReadAddrA] offset:6148 // L -> Reg lro=1536 swapByteOffset=0 ti=128 vIdx=0 rIdx=0 oIdx=0 buffer=3 iui=0
_ds_load_b32 v[vgprValuA_X3_I0+2], v[vgprLocalReadAddrA] offset:6656 // L -> Reg lro=1536 swapByteOffset=0 ti=128 vIdx=1 rIdx=0 oIdx=0 buffer=3 iui=0
	;; [unrolled: 1-line block ×3, first 2 shown]
_ds_load_b32 v[vgprValuB_X3_I0+1], v[vgprLocalReadAddrB] offset:6400 // L -> Reg lro=1536 swapByteOffset=0 ti=64 vIdx=1 rIdx=0 oIdx=0 buffer=3 iui=0
_ds_load_b32 v[vgprValuB_X3_I0+2], v[vgprLocalReadAddrB] offset:6656 // L -> Reg lro=1536 swapByteOffset=0 ti=64 vIdx=2 rIdx=0 oIdx=0 buffer=3 iui=0
	;; [unrolled: 1-line block ×3, first 2 shown]
v_mfma_f32_32x32x2_f32 a[112+0:127+0], v[vgprValuA_X0_I0+3+0+0], v[vgprValuB_X0_I0+1+0+0], a[112:127]
/*  mfmaIndex:5  */
/* localReadsVacancy: latencyLeft 13 */
_ds_load_b32 v[vgprValuA_X4_I0+0], v[vgprLocalReadAddrA] offset:8192 // L -> Reg lro=2048 swapByteOffset=0 ti=128 vIdx=0 rIdx=0 oIdx=0 buffer=4 iui=0
_ds_load_b32 v[vgprValuB_X4_I0+0], v[vgprLocalReadAddrB] offset:8192 // L -> Reg lro=2048 swapByteOffset=0 ti=64 vIdx=0 rIdx=0 oIdx=0 buffer=4 iui=0
_ds_load_b32 v[vgprValuA_X4_I0+1], v[vgprLocalReadAddrA] offset:8196 // L -> Reg lro=2048 swapByteOffset=0 ti=128 vIdx=0 rIdx=0 oIdx=0 buffer=4 iui=0
_ds_load_b32 v[vgprValuA_X4_I0+2], v[vgprLocalReadAddrA] offset:8704 // L -> Reg lro=2048 swapByteOffset=0 ti=128 vIdx=1 rIdx=0 oIdx=0 buffer=4 iui=0
	;; [unrolled: 1-line block ×3, first 2 shown]
_ds_load_b32 v[vgprValuB_X4_I0+1], v[vgprLocalReadAddrB] offset:8448 // L -> Reg lro=2048 swapByteOffset=0 ti=64 vIdx=1 rIdx=0 oIdx=0 buffer=4 iui=0
v_mfma_f32_32x32x2_f32 a[96+0:111+0], v[vgprValuA_X0_I0+2+0+0], v[vgprValuB_X0_I0+1+0+0], a[96:111]
/*  mfmaIndex:6  */
/* localReadsVacancy: latencyLeft 13 */
_ds_load_b32 v[vgprValuB_X4_I0+2], v[vgprLocalReadAddrB] offset:8704 // L -> Reg lro=2048 swapByteOffset=0 ti=64 vIdx=2 rIdx=0 oIdx=0 buffer=4 iui=0
_ds_load_b32 v[vgprValuB_X4_I0+3], v[vgprLocalReadAddrB] offset:8960 // L -> Reg lro=2048 swapByteOffset=0 ti=64 vIdx=3 rIdx=0 oIdx=0 buffer=4 iui=0
_ds_load_b32 v[vgprValuA_X5_I0+0], v[vgprLocalReadAddrA] offset:10240 // L -> Reg lro=2560 swapByteOffset=0 ti=128 vIdx=0 rIdx=0 oIdx=0 buffer=5 iui=0
_ds_load_b32 v[vgprValuB_X5_I0+0], v[vgprLocalReadAddrB] offset:10240 // L -> Reg lro=2560 swapByteOffset=0 ti=64 vIdx=0 rIdx=0 oIdx=0 buffer=5 iui=0
_ds_load_b32 v[vgprValuA_X5_I0+1], v[vgprLocalReadAddrA] offset:10244 // L -> Reg lro=2560 swapByteOffset=0 ti=128 vIdx=0 rIdx=0 oIdx=0 buffer=5 iui=0
_ds_load_b32 v[vgprValuA_X5_I0+2], v[vgprLocalReadAddrA] offset:10752 // L -> Reg lro=2560 swapByteOffset=0 ti=128 vIdx=1 rIdx=0 oIdx=0 buffer=5 iui=0
v_mfma_f32_32x32x2_f32 a[80+0:95+0], v[vgprValuA_X0_I0+1+0+0], v[vgprValuB_X0_I0+1+0+0], a[80:95]
/*  mfmaIndex:7  */
/* localReadsVacancy: latencyLeft 13 */
_ds_load_b32 v[vgprValuA_X5_I0+3], v[vgprLocalReadAddrA] offset:10756 // L -> Reg lro=2560 swapByteOffset=0 ti=128 vIdx=1 rIdx=0 oIdx=0 buffer=5 iui=0
_ds_load_b32 v[vgprValuB_X5_I0+1], v[vgprLocalReadAddrB] offset:10496 // L -> Reg lro=2560 swapByteOffset=0 ti=64 vIdx=1 rIdx=0 oIdx=0 buffer=5 iui=0
_ds_load_b32 v[vgprValuB_X5_I0+2], v[vgprLocalReadAddrB] offset:10752 // L -> Reg lro=2560 swapByteOffset=0 ti=64 vIdx=2 rIdx=0 oIdx=0 buffer=5 iui=0
	;; [unrolled: 1-line block ×3, first 2 shown]
_ds_load_b32 v[vgprValuA_X6_I0+0], v[vgprLocalReadAddrA] offset:12288 // L -> Reg lro=3072 swapByteOffset=0 ti=128 vIdx=0 rIdx=0 oIdx=0 buffer=6 iui=0
_ds_load_b32 v[vgprValuB_X6_I0+0], v[vgprLocalReadAddrB] offset:12288 // L -> Reg lro=3072 swapByteOffset=0 ti=64 vIdx=0 rIdx=0 oIdx=0 buffer=6 iui=0
v_mfma_f32_32x32x2_f32 a[64+0:79+0], v[vgprValuA_X0_I0+0+0+0], v[vgprValuB_X0_I0+1+0+0], a[64:79]
/*  mfmaIndex:8  */
/* localReadsVacancy: latencyLeft 13 */
_ds_load_b32 v[vgprValuA_X6_I0+1], v[vgprLocalReadAddrA] offset:12292 // L -> Reg lro=3072 swapByteOffset=0 ti=128 vIdx=0 rIdx=0 oIdx=0 buffer=6 iui=0
_ds_load_b32 v[vgprValuA_X6_I0+2], v[vgprLocalReadAddrA] offset:12800 // L -> Reg lro=3072 swapByteOffset=0 ti=128 vIdx=1 rIdx=0 oIdx=0 buffer=6 iui=0
	;; [unrolled: 1-line block ×3, first 2 shown]
_ds_load_b32 v[vgprValuB_X6_I0+1], v[vgprLocalReadAddrB] offset:12544 // L -> Reg lro=3072 swapByteOffset=0 ti=64 vIdx=1 rIdx=0 oIdx=0 buffer=6 iui=0
_ds_load_b32 v[vgprValuB_X6_I0+2], v[vgprLocalReadAddrB] offset:12800 // L -> Reg lro=3072 swapByteOffset=0 ti=64 vIdx=2 rIdx=0 oIdx=0 buffer=6 iui=0
	;; [unrolled: 1-line block ×3, first 2 shown]
v_mfma_f32_32x32x2_f32 a[128+0:143+0], v[vgprValuA_X0_I0+0+0+0], v[vgprValuB_X0_I0+2+0+0], a[128:143]
/*  mfmaIndex:9  */
/* localReadsVacancy: latencyLeft 13 */
_ds_load_b32 v[vgprValuA_X7_I0+0], v[vgprLocalReadAddrA] offset:14336 // L -> Reg lro=3584 swapByteOffset=0 ti=128 vIdx=0 rIdx=0 oIdx=0 buffer=7 iui=0
_ds_load_b32 v[vgprValuB_X7_I0+0], v[vgprLocalReadAddrB] offset:14336 // L -> Reg lro=3584 swapByteOffset=0 ti=64 vIdx=0 rIdx=0 oIdx=0 buffer=7 iui=0
_ds_load_b32 v[vgprValuA_X7_I0+1], v[vgprLocalReadAddrA] offset:14340 // L -> Reg lro=3584 swapByteOffset=0 ti=128 vIdx=0 rIdx=0 oIdx=0 buffer=7 iui=0
_ds_load_b32 v[vgprValuA_X7_I0+2], v[vgprLocalReadAddrA] offset:14848 // L -> Reg lro=3584 swapByteOffset=0 ti=128 vIdx=1 rIdx=0 oIdx=0 buffer=7 iui=0
	;; [unrolled: 1-line block ×3, first 2 shown]
_ds_load_b32 v[vgprValuB_X7_I0+1], v[vgprLocalReadAddrB] offset:14592 // L -> Reg lro=3584 swapByteOffset=0 ti=64 vIdx=1 rIdx=0 oIdx=0 buffer=7 iui=0
v_mfma_f32_32x32x2_f32 a[144+0:159+0], v[vgprValuA_X0_I0+1+0+0], v[vgprValuB_X0_I0+2+0+0], a[144:159]
/*  mfmaIndex:10  */
/* localReadsVacancy: latencyLeft 13 */
_ds_load_b32 v[vgprValuB_X7_I0+2], v[vgprLocalReadAddrB] offset:14848 // L -> Reg lro=3584 swapByteOffset=0 ti=64 vIdx=2 rIdx=0 oIdx=0 buffer=7 iui=0
_ds_load_b32 v[vgprValuB_X7_I0+3], v[vgprLocalReadAddrB] offset:15104 // L -> Reg lro=3584 swapByteOffset=0 ti=64 vIdx=3 rIdx=0 oIdx=0 buffer=7 iui=0
_ds_load_b32 v[vgprValuA_X8_I0+0], v[vgprLocalReadAddrA] offset:16384 // L -> Reg lro=4096 swapByteOffset=0 ti=128 vIdx=0 rIdx=0 oIdx=0 buffer=8 iui=0
_ds_load_b32 v[vgprValuB_X8_I0+0], v[vgprLocalReadAddrB] offset:16384 // L -> Reg lro=4096 swapByteOffset=0 ti=64 vIdx=0 rIdx=0 oIdx=0 buffer=8 iui=0
_ds_load_b32 v[vgprValuA_X8_I0+1], v[vgprLocalReadAddrA] offset:16388 // L -> Reg lro=4096 swapByteOffset=0 ti=128 vIdx=0 rIdx=0 oIdx=0 buffer=8 iui=0
_ds_load_b32 v[vgprValuA_X8_I0+2], v[vgprLocalReadAddrA] offset:16896 // L -> Reg lro=4096 swapByteOffset=0 ti=128 vIdx=1 rIdx=0 oIdx=0 buffer=8 iui=0
v_mfma_f32_32x32x2_f32 a[160+0:175+0], v[vgprValuA_X0_I0+2+0+0], v[vgprValuB_X0_I0+2+0+0], a[160:175]
/*  mfmaIndex:11  */
/* localReadsVacancy: latencyLeft 13 */
_ds_load_b32 v[vgprValuA_X8_I0+3], v[vgprLocalReadAddrA] offset:16900 // L -> Reg lro=4096 swapByteOffset=0 ti=128 vIdx=1 rIdx=0 oIdx=0 buffer=8 iui=0
_ds_load_b32 v[vgprValuB_X8_I0+1], v[vgprLocalReadAddrB] offset:16640 // L -> Reg lro=4096 swapByteOffset=0 ti=64 vIdx=1 rIdx=0 oIdx=0 buffer=8 iui=0
_ds_load_b32 v[vgprValuB_X8_I0+2], v[vgprLocalReadAddrB] offset:16896 // L -> Reg lro=4096 swapByteOffset=0 ti=64 vIdx=2 rIdx=0 oIdx=0 buffer=8 iui=0
	;; [unrolled: 1-line block ×3, first 2 shown]
_ds_load_b32 v[vgprValuA_X9_I0+0], v[vgprLocalReadAddrA] offset:18432 // L -> Reg lro=4608 swapByteOffset=0 ti=128 vIdx=0 rIdx=0 oIdx=0 buffer=9 iui=0
_ds_load_b32 v[vgprValuB_X9_I0+0], v[vgprLocalReadAddrB] offset:18432 // L -> Reg lro=4608 swapByteOffset=0 ti=64 vIdx=0 rIdx=0 oIdx=0 buffer=9 iui=0
v_mfma_f32_32x32x2_f32 a[176+0:191+0], v[vgprValuA_X0_I0+3+0+0], v[vgprValuB_X0_I0+2+0+0], a[176:191]
/*  mfmaIndex:12  */
/* localReadsVacancy: latencyLeft 13 */
_ds_load_b32 v[vgprValuA_X9_I0+1], v[vgprLocalReadAddrA] offset:18436 // L -> Reg lro=4608 swapByteOffset=0 ti=128 vIdx=0 rIdx=0 oIdx=0 buffer=9 iui=0
_ds_load_b32 v[vgprValuA_X9_I0+2], v[vgprLocalReadAddrA] offset:18944 // L -> Reg lro=4608 swapByteOffset=0 ti=128 vIdx=1 rIdx=0 oIdx=0 buffer=9 iui=0
	;; [unrolled: 1-line block ×3, first 2 shown]
_ds_load_b32 v[vgprValuB_X9_I0+1], v[vgprLocalReadAddrB] offset:18688 // L -> Reg lro=4608 swapByteOffset=0 ti=64 vIdx=1 rIdx=0 oIdx=0 buffer=9 iui=0
_ds_load_b32 v[vgprValuB_X9_I0+2], v[vgprLocalReadAddrB] offset:18944 // L -> Reg lro=4608 swapByteOffset=0 ti=64 vIdx=2 rIdx=0 oIdx=0 buffer=9 iui=0
	;; [unrolled: 1-line block ×3, first 2 shown]
v_mfma_f32_32x32x2_f32 a[240+0:255+0], v[vgprValuA_X0_I0+3+0+0], v[vgprValuB_X0_I0+3+0+0], a[240:255]
/*  mfmaIndex:13  */
/* localReadsVacancy: latencyLeft 13 */
_ds_load_b32 v[vgprValuA_X10_I0+0], v[vgprLocalReadAddrA] offset:20480 // L -> Reg lro=5120 swapByteOffset=0 ti=128 vIdx=0 rIdx=0 oIdx=0 buffer=10 iui=0
_ds_load_b32 v[vgprValuB_X10_I0+0], v[vgprLocalReadAddrB] offset:20480 // L -> Reg lro=5120 swapByteOffset=0 ti=64 vIdx=0 rIdx=0 oIdx=0 buffer=10 iui=0
_ds_load_b32 v[vgprValuA_X10_I0+1], v[vgprLocalReadAddrA] offset:20484 // L -> Reg lro=5120 swapByteOffset=0 ti=128 vIdx=0 rIdx=0 oIdx=0 buffer=10 iui=0
_ds_load_b32 v[vgprValuA_X10_I0+2], v[vgprLocalReadAddrA] offset:20992 // L -> Reg lro=5120 swapByteOffset=0 ti=128 vIdx=1 rIdx=0 oIdx=0 buffer=10 iui=0
	;; [unrolled: 1-line block ×3, first 2 shown]
_ds_load_b32 v[vgprValuB_X10_I0+1], v[vgprLocalReadAddrB] offset:20736 // L -> Reg lro=5120 swapByteOffset=0 ti=64 vIdx=1 rIdx=0 oIdx=0 buffer=10 iui=0
v_mfma_f32_32x32x2_f32 a[224+0:239+0], v[vgprValuA_X0_I0+2+0+0], v[vgprValuB_X0_I0+3+0+0], a[224:239]
/*  mfmaIndex:14  */
/* localReadsVacancy: latencyLeft 13 */
_ds_load_b32 v[vgprValuB_X10_I0+2], v[vgprLocalReadAddrB] offset:20992 // L -> Reg lro=5120 swapByteOffset=0 ti=64 vIdx=2 rIdx=0 oIdx=0 buffer=10 iui=0
_ds_load_b32 v[vgprValuB_X10_I0+3], v[vgprLocalReadAddrB] offset:21248 // L -> Reg lro=5120 swapByteOffset=0 ti=64 vIdx=3 rIdx=0 oIdx=0 buffer=10 iui=0
_ds_load_b32 v[vgprValuA_X11_I0+0], v[vgprLocalReadAddrA] offset:22528 // L -> Reg lro=5632 swapByteOffset=0 ti=128 vIdx=0 rIdx=0 oIdx=0 buffer=11 iui=0
_ds_load_b32 v[vgprValuB_X11_I0+0], v[vgprLocalReadAddrB] offset:22528 // L -> Reg lro=5632 swapByteOffset=0 ti=64 vIdx=0 rIdx=0 oIdx=0 buffer=11 iui=0
_ds_load_b32 v[vgprValuA_X11_I0+1], v[vgprLocalReadAddrA] offset:22532 // L -> Reg lro=5632 swapByteOffset=0 ti=128 vIdx=0 rIdx=0 oIdx=0 buffer=11 iui=0
_ds_load_b32 v[vgprValuA_X11_I0+2], v[vgprLocalReadAddrA] offset:23040 // L -> Reg lro=5632 swapByteOffset=0 ti=128 vIdx=1 rIdx=0 oIdx=0 buffer=11 iui=0
v_mfma_f32_32x32x2_f32 a[208+0:223+0], v[vgprValuA_X0_I0+1+0+0], v[vgprValuB_X0_I0+3+0+0], a[208:223]
/*  mfmaIndex:15  */
/* localReadsVacancy: latencyLeft 13 */
_ds_load_b32 v[vgprValuA_X11_I0+3], v[vgprLocalReadAddrA] offset:23044 // L -> Reg lro=5632 swapByteOffset=0 ti=128 vIdx=1 rIdx=0 oIdx=0 buffer=11 iui=0
_ds_load_b32 v[vgprValuB_X11_I0+1], v[vgprLocalReadAddrB] offset:22784 // L -> Reg lro=5632 swapByteOffset=0 ti=64 vIdx=1 rIdx=0 oIdx=0 buffer=11 iui=0
_ds_load_b32 v[vgprValuB_X11_I0+2], v[vgprLocalReadAddrB] offset:23040 // L -> Reg lro=5632 swapByteOffset=0 ti=64 vIdx=2 rIdx=0 oIdx=0 buffer=11 iui=0
	;; [unrolled: 1-line block ×3, first 2 shown]
_ds_load_b32 v[vgprValuA_X12_I0+0], v[vgprLocalReadAddrA] offset:24576 // L -> Reg lro=6144 swapByteOffset=0 ti=128 vIdx=0 rIdx=0 oIdx=0 buffer=12 iui=0
_ds_load_b32 v[vgprValuB_X12_I0+0], v[vgprLocalReadAddrB] offset:24576 // L -> Reg lro=6144 swapByteOffset=0 ti=64 vIdx=0 rIdx=0 oIdx=0 buffer=12 iui=0
v_mfma_f32_32x32x2_f32 a[192+0:207+0], v[vgprValuA_X0_I0+0+0+0], v[vgprValuB_X0_I0+3+0+0], a[192:207]
/* numPrefetchIter=0 */
/* dataAtIterA=-1 numReadsIterA=1 skipReadsIterA=1 readsPerIterA=4 */
/* dataAtIterB=-1 numReadsIterB=1 skipReadsIterB=1 readsPerIterB=4 */


/* iter 1 */

/*  grEndMfmaIndex:2, lwStartMfmaIndex:37, lwEndMfmaIndex:252  */
/*  numMfmaForLR:2, barrierMfmaIndex:253, LocalWritePerMfma:0.070 */
/*  mfmaIndex:16  */
/* localReadsVacancy: latencyLeft 13 */
_ds_load_b32 v[vgprValuA_X12_I0+1], v[vgprLocalReadAddrA] offset:24580 // L -> Reg lro=6144 swapByteOffset=0 ti=128 vIdx=0 rIdx=0 oIdx=0 buffer=12 iui=0
_ds_load_b32 v[vgprValuA_X12_I0+2], v[vgprLocalReadAddrA] offset:25088 // L -> Reg lro=6144 swapByteOffset=0 ti=128 vIdx=1 rIdx=0 oIdx=0 buffer=12 iui=0
	;; [unrolled: 1-line block ×3, first 2 shown]
_ds_load_b32 v[vgprValuB_X12_I0+1], v[vgprLocalReadAddrB] offset:24832 // L -> Reg lro=6144 swapByteOffset=0 ti=64 vIdx=1 rIdx=0 oIdx=0 buffer=12 iui=0
_ds_load_b32 v[vgprValuB_X12_I0+2], v[vgprLocalReadAddrB] offset:25088 // L -> Reg lro=6144 swapByteOffset=0 ti=64 vIdx=2 rIdx=0 oIdx=0 buffer=12 iui=0
_ds_load_b32 v[vgprValuB_X12_I0+3], v[vgprLocalReadAddrB] offset:25344 // L -> Reg lro=6144 swapByteOffset=0 ti=64 vIdx=3 rIdx=0 oIdx=0 buffer=12 iui=0
s_waitcnt lgkmcnt(15)                              // lgkmcnt=0 vmcnt=-1wait for prior local read local write old=8, new=8 newLW=0 newLR=0
v_mfma_f32_32x32x2_f32 a[0+0:15+0], v[vgprValuA_X1_I0+0+0+0], v[vgprValuB_X1_I0+0+0+0], a[0:15]
/*  mfmaIndex:17  */
/* localReadsVacancy: latencyLeft 13 */
_ds_load_b32 v[vgprValuA_X13_I0+0], v[vgprLocalReadAddrA] offset:26624 // L -> Reg lro=6656 swapByteOffset=0 ti=128 vIdx=0 rIdx=0 oIdx=0 buffer=13 iui=0
_ds_load_b32 v[vgprValuB_X13_I0+0], v[vgprLocalReadAddrB] offset:26624 // L -> Reg lro=6656 swapByteOffset=0 ti=64 vIdx=0 rIdx=0 oIdx=0 buffer=13 iui=0
_ds_load_b32 v[vgprValuA_X13_I0+1], v[vgprLocalReadAddrA] offset:26628 // L -> Reg lro=6656 swapByteOffset=0 ti=128 vIdx=0 rIdx=0 oIdx=0 buffer=13 iui=0
_ds_load_b32 v[vgprValuA_X13_I0+2], v[vgprLocalReadAddrA] offset:27136 // L -> Reg lro=6656 swapByteOffset=0 ti=128 vIdx=1 rIdx=0 oIdx=0 buffer=13 iui=0
	;; [unrolled: 1-line block ×3, first 2 shown]
_ds_load_b32 v[vgprValuB_X13_I0+1], v[vgprLocalReadAddrB] offset:26880 // L -> Reg lro=6656 swapByteOffset=0 ti=64 vIdx=1 rIdx=0 oIdx=0 buffer=13 iui=0
v_mfma_f32_32x32x2_f32 a[16+0:31+0], v[vgprValuA_X1_I0+1+0+0], v[vgprValuB_X1_I0+0+0+0], a[16:31]
/*  mfmaIndex:18  */
/* localReadsVacancy: latencyLeft 13 */
_ds_load_b32 v[vgprValuB_X13_I0+2], v[vgprLocalReadAddrB] offset:27136 // L -> Reg lro=6656 swapByteOffset=0 ti=64 vIdx=2 rIdx=0 oIdx=0 buffer=13 iui=0
_ds_load_b32 v[vgprValuB_X13_I0+3], v[vgprLocalReadAddrB] offset:27392 // L -> Reg lro=6656 swapByteOffset=0 ti=64 vIdx=3 rIdx=0 oIdx=0 buffer=13 iui=0
_ds_load_b32 v[vgprValuA_X14_I0+0], v[vgprLocalReadAddrA] offset:28672 // L -> Reg lro=7168 swapByteOffset=0 ti=128 vIdx=0 rIdx=0 oIdx=0 buffer=14 iui=0
_ds_load_b32 v[vgprValuB_X14_I0+0], v[vgprLocalReadAddrB] offset:28672 // L -> Reg lro=7168 swapByteOffset=0 ti=64 vIdx=0 rIdx=0 oIdx=0 buffer=14 iui=0
_ds_load_b32 v[vgprValuA_X14_I0+1], v[vgprLocalReadAddrA] offset:28676 // L -> Reg lro=7168 swapByteOffset=0 ti=128 vIdx=0 rIdx=0 oIdx=0 buffer=14 iui=0
_ds_load_b32 v[vgprValuA_X14_I0+2], v[vgprLocalReadAddrA] offset:29184 // L -> Reg lro=7168 swapByteOffset=0 ti=128 vIdx=1 rIdx=0 oIdx=0 buffer=14 iui=0
v_mfma_f32_32x32x2_f32 a[32+0:47+0], v[vgprValuA_X1_I0+2+0+0], v[vgprValuB_X1_I0+0+0+0], a[32:47]
/*  mfmaIndex:19  */
/* localReadsVacancy: latencyLeft 13 */
_ds_load_b32 v[vgprValuA_X14_I0+3], v[vgprLocalReadAddrA] offset:29188 // L -> Reg lro=7168 swapByteOffset=0 ti=128 vIdx=1 rIdx=0 oIdx=0 buffer=14 iui=0
_ds_load_b32 v[vgprValuB_X14_I0+1], v[vgprLocalReadAddrB] offset:28928 // L -> Reg lro=7168 swapByteOffset=0 ti=64 vIdx=1 rIdx=0 oIdx=0 buffer=14 iui=0
_ds_load_b32 v[vgprValuB_X14_I0+2], v[vgprLocalReadAddrB] offset:29184 // L -> Reg lro=7168 swapByteOffset=0 ti=64 vIdx=2 rIdx=0 oIdx=0 buffer=14 iui=0
	;; [unrolled: 1-line block ×3, first 2 shown]
_ds_load_b32 v[vgprValuA_X15_I0+0], v[vgprLocalReadAddrA] offset:30720 // L -> Reg lro=7680 swapByteOffset=0 ti=128 vIdx=0 rIdx=0 oIdx=0 buffer=15 iui=0
_ds_load_b32 v[vgprValuB_X15_I0+0], v[vgprLocalReadAddrB] offset:30720 // L -> Reg lro=7680 swapByteOffset=0 ti=64 vIdx=0 rIdx=0 oIdx=0 buffer=15 iui=0
v_mfma_f32_32x32x2_f32 a[48+0:63+0], v[vgprValuA_X1_I0+3+0+0], v[vgprValuB_X1_I0+0+0+0], a[48:63]
/*  mfmaIndex:20  */
/* localReadsVacancy: latencyLeft 13 */
_ds_load_b32 v[vgprValuA_X15_I0+1], v[vgprLocalReadAddrA] offset:30724 // L -> Reg lro=7680 swapByteOffset=0 ti=128 vIdx=0 rIdx=0 oIdx=0 buffer=15 iui=0
_ds_load_b32 v[vgprValuA_X15_I0+2], v[vgprLocalReadAddrA] offset:31232 // L -> Reg lro=7680 swapByteOffset=0 ti=128 vIdx=1 rIdx=0 oIdx=0 buffer=15 iui=0
	;; [unrolled: 1-line block ×3, first 2 shown]
_ds_load_b32 v[vgprValuB_X15_I0+1], v[vgprLocalReadAddrB] offset:30976 // L -> Reg lro=7680 swapByteOffset=0 ti=64 vIdx=1 rIdx=0 oIdx=0 buffer=15 iui=0
_ds_load_b32 v[vgprValuB_X15_I0+2], v[vgprLocalReadAddrB] offset:31232 // L -> Reg lro=7680 swapByteOffset=0 ti=64 vIdx=2 rIdx=0 oIdx=0 buffer=15 iui=0
	;; [unrolled: 1-line block ×3, first 2 shown]
v_mfma_f32_32x32x2_f32 a[112+0:127+0], v[vgprValuA_X1_I0+3+0+0], v[vgprValuB_X1_I0+1+0+0], a[112:127]
/*  mfmaIndex:21  */
/* localReadsVacancy: latencyLeft 13 */
v_mfma_f32_32x32x2_f32 a[96+0:111+0], v[vgprValuA_X1_I0+2+0+0], v[vgprValuB_X1_I0+1+0+0], a[96:111]
/*  mfmaIndex:22  */
/* localReadsVacancy: latencyLeft 13 */
v_mfma_f32_32x32x2_f32 a[80+0:95+0], v[vgprValuA_X1_I0+1+0+0], v[vgprValuB_X1_I0+1+0+0], a[80:95]
/*  mfmaIndex:23  */
/* localReadsVacancy: latencyLeft 13 */
v_mfma_f32_32x32x2_f32 a[64+0:79+0], v[vgprValuA_X1_I0+0+0+0], v[vgprValuB_X1_I0+1+0+0], a[64:79]
/*  mfmaIndex:24  */
/* localReadsVacancy: latencyLeft 13 */
v_mfma_f32_32x32x2_f32 a[128+0:143+0], v[vgprValuA_X1_I0+0+0+0], v[vgprValuB_X1_I0+2+0+0], a[128:143]
/*  mfmaIndex:25  */
/* localReadsVacancy: latencyLeft 13 */
v_mfma_f32_32x32x2_f32 a[144+0:159+0], v[vgprValuA_X1_I0+1+0+0], v[vgprValuB_X1_I0+2+0+0], a[144:159]
/*  mfmaIndex:26  */
/* localReadsVacancy: latencyLeft 13 */
v_mfma_f32_32x32x2_f32 a[160+0:175+0], v[vgprValuA_X1_I0+2+0+0], v[vgprValuB_X1_I0+2+0+0], a[160:175]
/*  mfmaIndex:27  */
/* localReadsVacancy: latencyLeft 13 */
v_mfma_f32_32x32x2_f32 a[176+0:191+0], v[vgprValuA_X1_I0+3+0+0], v[vgprValuB_X1_I0+2+0+0], a[176:191]
/*  mfmaIndex:28  */
/* localReadsVacancy: latencyLeft 13 */
v_mfma_f32_32x32x2_f32 a[240+0:255+0], v[vgprValuA_X1_I0+3+0+0], v[vgprValuB_X1_I0+3+0+0], a[240:255]
/*  mfmaIndex:29  */
/* localReadsVacancy: latencyLeft 13 */
v_mfma_f32_32x32x2_f32 a[224+0:239+0], v[vgprValuA_X1_I0+2+0+0], v[vgprValuB_X1_I0+3+0+0], a[224:239]
/*  mfmaIndex:30  */
/* localReadsVacancy: latencyLeft 13 */
v_mfma_f32_32x32x2_f32 a[208+0:223+0], v[vgprValuA_X1_I0+1+0+0], v[vgprValuB_X1_I0+3+0+0], a[208:223]
/*  mfmaIndex:31  */
/* localReadsVacancy: latencyLeft 13 */
v_mfma_f32_32x32x2_f32 a[192+0:207+0], v[vgprValuA_X1_I0+0+0+0], v[vgprValuB_X1_I0+3+0+0], a[192:207]
/* numPrefetchIter=0 */
/* dataAtIterA=0 numReadsIterA=2 skipReadsIterA=1 readsPerIterA=4 */
/* dataAtIterB=0 numReadsIterB=2 skipReadsIterB=1 readsPerIterB=4 */


/* iter 2 */

/*  grEndMfmaIndex:2, lwStartMfmaIndex:37, lwEndMfmaIndex:252  */
/*  numMfmaForLR:2, barrierMfmaIndex:253, LocalWritePerMfma:0.070 */
/*  mfmaIndex:32  */
/* localReadsVacancy: latencyLeft 13 */
s_waitcnt lgkmcnt(15)                              // lgkmcnt=0 vmcnt=-1wait for prior local read local write old=0, new=0 newLW=0 newLR=0
v_mfma_f32_32x32x2_f32 a[0+0:15+0], v[vgprValuA_X2_I0+0+0+0], v[vgprValuB_X2_I0+0+0+0], a[0:15]
/*  mfmaIndex:33  */
/* localReadsVacancy: latencyLeft 13 */
v_mfma_f32_32x32x2_f32 a[16+0:31+0], v[vgprValuA_X2_I0+1+0+0], v[vgprValuB_X2_I0+0+0+0], a[16:31]
/*  mfmaIndex:34  */
/* localReadsVacancy: latencyLeft 13 */
	;; [unrolled: 3-line block ×4, first 2 shown]
/* 1 LDS buffer: read-sync-write */
s_waitcnt lgkmcnt(0)                               // 
s_barrier                                          // 
v_mfma_f32_32x32x2_f32 a[112+0:127+0], v[vgprValuA_X2_I0+3+0+0], v[vgprValuB_X2_I0+1+0+0], a[112:127]
/*  mfmaIndex:37  */
/* localReadsVacancy: latencyLeft 9 */
s_setprio 3                                        // store optimization
/* sched write - iter 2 writesPerItem=4 */
s_waitcnt vmcnt(0)                                 // lgkmcnt=-1 vmcnt=0wait for global read before writing to local
_ds_store_b32 v[vgprLocalWriteAddrA], v[vgprG2LA+0] offset:0 // lwoA_0_0_0_0 = (0 + 0*LSCA)*(MT0I+PAD) + (0*LSPA) = 0
_ds_store_b32 v[vgprLocalWriteAddrA], v[vgprG2LA+1] offset:1024 // lwoA_0_1_0_0 = (1 + 0*LSCA)*(MT0I+PAD) + (0*LSPA) = 1024
_ds_store_b32 v[vgprLocalWriteAddrA], v[vgprG2LA+2] offset:2048 // lwoA_0_2_0_0 = (2 + 0*LSCA)*(MT0I+PAD) + (0*LSPA) = 2048
_ds_store_b32 v[vgprLocalWriteAddrA], v[vgprG2LA+3] offset:3072 // lwoA_0_3_0_0 = (3 + 0*LSCA)*(MT0I+PAD) + (0*LSPA) = 3072
v_mfma_f32_32x32x2_f32 a[96+0:111+0], v[vgprValuA_X2_I0+2+0+0], v[vgprValuB_X2_I0+1+0+0], a[96:111]
/*  mfmaIndex:38  */
_buffer_load_b128 v[vgprG2LA+0:vgprG2LA+0+3], v[vgprGlobalReadOffsetA+0], s[sgprSrdA:sgprSrdA+3], 0, offen offset:0 // G -> Reg 0_0_0_0
v_mfma_f32_32x32x2_f32 a[80+0:95+0], v[vgprValuA_X2_I0+1+0+0], v[vgprValuB_X2_I0+1+0+0], a[80:95]
/*  mfmaIndex:39  */
v_mfma_f32_32x32x2_f32 a[64+0:79+0], v[vgprValuA_X2_I0+0+0+0], v[vgprValuB_X2_I0+1+0+0], a[64:79]
/*  mfmaIndex:40  */
	;; [unrolled: 2-line block ×9, first 2 shown]
v_mfma_f32_32x32x2_f32 a[192+0:207+0], v[vgprValuA_X2_I0+0+0+0], v[vgprValuB_X2_I0+3+0+0], a[192:207]
/* numPrefetchIter=0 */
/* dataAtIterA=1 numReadsIterA=3 skipReadsIterA=1 readsPerIterA=4 */
/* dataAtIterB=1 numReadsIterB=3 skipReadsIterB=1 readsPerIterB=4 */


/* iter 3 */

/*  grEndMfmaIndex:2, lwStartMfmaIndex:37, lwEndMfmaIndex:252  */
/*  numMfmaForLR:2, barrierMfmaIndex:253, LocalWritePerMfma:0.070 */
/*  mfmaIndex:48  */
v_mfma_f32_32x32x2_f32 a[0+0:15+0], v[vgprValuA_X3_I0+0+0+0], v[vgprValuB_X3_I0+0+0+0], a[0:15]
/*  mfmaIndex:49  */
v_mfma_f32_32x32x2_f32 a[16+0:31+0], v[vgprValuA_X3_I0+1+0+0], v[vgprValuB_X3_I0+0+0+0], a[16:31]
	;; [unrolled: 2-line block ×3, first 2 shown]
/*  mfmaIndex:51  */
/* sched write - iter 3 writesPerItem=4 */
s_waitcnt vmcnt(0)                                 // lgkmcnt=-1 vmcnt=0wait for global read before writing to local
_ds_store_b32 v[vgprLocalWriteAddrA], v[vgprG2LA+4] offset:128 // lwoA_0_0_1_0 = (0 + 0*LSCA)*(MT0I+PAD) + (1*LSPA) = 128
_ds_store_b32 v[vgprLocalWriteAddrA], v[vgprG2LA+5] offset:1152 // lwoA_0_1_1_0 = (1 + 0*LSCA)*(MT0I+PAD) + (1*LSPA) = 1152
_ds_store_b32 v[vgprLocalWriteAddrA], v[vgprG2LA+6] offset:2176 // lwoA_0_2_1_0 = (2 + 0*LSCA)*(MT0I+PAD) + (1*LSPA) = 2176
_ds_store_b32 v[vgprLocalWriteAddrA], v[vgprG2LA+7] offset:3200 // lwoA_0_3_1_0 = (3 + 0*LSCA)*(MT0I+PAD) + (1*LSPA) = 3200
v_mfma_f32_32x32x2_f32 a[48+0:63+0], v[vgprValuA_X3_I0+3+0+0], v[vgprValuB_X3_I0+0+0+0], a[48:63]
/*  mfmaIndex:52  */
_buffer_load_b128 v[vgprG2LA+4:vgprG2LA+4+3], v[vgprGlobalReadOffsetA+0], s[sgprSrdA:sgprSrdA+3], s[sgprScalarGlobalReadOffsetA+0], offen offset:0 // G -> Reg 0_0_1_0
v_mfma_f32_32x32x2_f32 a[112+0:127+0], v[vgprValuA_X3_I0+3+0+0], v[vgprValuB_X3_I0+1+0+0], a[112:127]
/*  mfmaIndex:53  */
v_mfma_f32_32x32x2_f32 a[96+0:111+0], v[vgprValuA_X3_I0+2+0+0], v[vgprValuB_X3_I0+1+0+0], a[96:111]
/*  mfmaIndex:54  */
	;; [unrolled: 2-line block ×11, first 2 shown]
v_mfma_f32_32x32x2_f32 a[192+0:207+0], v[vgprValuA_X3_I0+0+0+0], v[vgprValuB_X3_I0+3+0+0], a[192:207]


/* iter 4 */

/*  grEndMfmaIndex:2, lwStartMfmaIndex:37, lwEndMfmaIndex:252  */
/*  numMfmaForLR:2, barrierMfmaIndex:253, LocalWritePerMfma:0.070 */
/*  mfmaIndex:64  */
v_mfma_f32_32x32x2_f32 a[0+0:15+0], v[vgprValuA_X4_I0+0+0+0], v[vgprValuB_X4_I0+0+0+0], a[0:15]
/*  mfmaIndex:65  */
/* sched write - iter 4 writesPerItem=4 */
s_waitcnt vmcnt(0)                                 // lgkmcnt=-1 vmcnt=0wait for global read before writing to local
_ds_store_b32 v[vgprLocalWriteAddrA], v[vgprG2LA+8] offset:256 // lwoA_0_0_2_0 = (0 + 0*LSCA)*(MT0I+PAD) + (2*LSPA) = 256
_ds_store_b32 v[vgprLocalWriteAddrA], v[vgprG2LA+9] offset:1280 // lwoA_0_1_2_0 = (1 + 0*LSCA)*(MT0I+PAD) + (2*LSPA) = 1280
_ds_store_b32 v[vgprLocalWriteAddrA], v[vgprG2LA+10] offset:2304 // lwoA_0_2_2_0 = (2 + 0*LSCA)*(MT0I+PAD) + (2*LSPA) = 2304
_ds_store_b32 v[vgprLocalWriteAddrA], v[vgprG2LA+11] offset:3328 // lwoA_0_3_2_0 = (3 + 0*LSCA)*(MT0I+PAD) + (2*LSPA) = 3328
v_mfma_f32_32x32x2_f32 a[16+0:31+0], v[vgprValuA_X4_I0+1+0+0], v[vgprValuB_X4_I0+0+0+0], a[16:31]
/*  mfmaIndex:66  */
_buffer_load_b128 v[vgprG2LA+8:vgprG2LA+8+3], v[vgprGlobalReadOffsetA+0], s[sgprSrdA:sgprSrdA+3], s[sgprScalarGlobalReadOffsetA+1], offen offset:0 // G -> Reg 0_0_2_0
v_mfma_f32_32x32x2_f32 a[32+0:47+0], v[vgprValuA_X4_I0+2+0+0], v[vgprValuB_X4_I0+0+0+0], a[32:47]
/*  mfmaIndex:67  */
v_mfma_f32_32x32x2_f32 a[48+0:63+0], v[vgprValuA_X4_I0+3+0+0], v[vgprValuB_X4_I0+0+0+0], a[48:63]
/*  mfmaIndex:68  */
v_mfma_f32_32x32x2_f32 a[112+0:127+0], v[vgprValuA_X4_I0+3+0+0], v[vgprValuB_X4_I0+1+0+0], a[112:127]
/*  mfmaIndex:69  */
v_mfma_f32_32x32x2_f32 a[96+0:111+0], v[vgprValuA_X4_I0+2+0+0], v[vgprValuB_X4_I0+1+0+0], a[96:111]
/*  mfmaIndex:70  */
v_mfma_f32_32x32x2_f32 a[80+0:95+0], v[vgprValuA_X4_I0+1+0+0], v[vgprValuB_X4_I0+1+0+0], a[80:95]
/*  mfmaIndex:71  */
v_mfma_f32_32x32x2_f32 a[64+0:79+0], v[vgprValuA_X4_I0+0+0+0], v[vgprValuB_X4_I0+1+0+0], a[64:79]
/*  mfmaIndex:72  */
v_mfma_f32_32x32x2_f32 a[128+0:143+0], v[vgprValuA_X4_I0+0+0+0], v[vgprValuB_X4_I0+2+0+0], a[128:143]
/*  mfmaIndex:73  */
v_mfma_f32_32x32x2_f32 a[144+0:159+0], v[vgprValuA_X4_I0+1+0+0], v[vgprValuB_X4_I0+2+0+0], a[144:159]
/*  mfmaIndex:74  */
v_mfma_f32_32x32x2_f32 a[160+0:175+0], v[vgprValuA_X4_I0+2+0+0], v[vgprValuB_X4_I0+2+0+0], a[160:175]
/*  mfmaIndex:75  */
v_mfma_f32_32x32x2_f32 a[176+0:191+0], v[vgprValuA_X4_I0+3+0+0], v[vgprValuB_X4_I0+2+0+0], a[176:191]
/*  mfmaIndex:76  */
v_mfma_f32_32x32x2_f32 a[240+0:255+0], v[vgprValuA_X4_I0+3+0+0], v[vgprValuB_X4_I0+3+0+0], a[240:255]
/*  mfmaIndex:77  */
v_mfma_f32_32x32x2_f32 a[224+0:239+0], v[vgprValuA_X4_I0+2+0+0], v[vgprValuB_X4_I0+3+0+0], a[224:239]
/*  mfmaIndex:78  */
v_mfma_f32_32x32x2_f32 a[208+0:223+0], v[vgprValuA_X4_I0+1+0+0], v[vgprValuB_X4_I0+3+0+0], a[208:223]
/*  mfmaIndex:79  */
/* sched write - iter 4 writesPerItem=4 */
s_waitcnt vmcnt(0)                                 // lgkmcnt=-1 vmcnt=0wait for global read before writing to local
_ds_store_b32 v[vgprLocalWriteAddrA], v[vgprG2LA+12] offset:384 // lwoA_0_0_3_0 = (0 + 0*LSCA)*(MT0I+PAD) + (3*LSPA) = 384
_ds_store_b32 v[vgprLocalWriteAddrA], v[vgprG2LA+13] offset:1408 // lwoA_0_1_3_0 = (1 + 0*LSCA)*(MT0I+PAD) + (3*LSPA) = 1408
_ds_store_b32 v[vgprLocalWriteAddrA], v[vgprG2LA+14] offset:2432 // lwoA_0_2_3_0 = (2 + 0*LSCA)*(MT0I+PAD) + (3*LSPA) = 2432
_ds_store_b32 v[vgprLocalWriteAddrA], v[vgprG2LA+15] offset:3456 // lwoA_0_3_3_0 = (3 + 0*LSCA)*(MT0I+PAD) + (3*LSPA) = 3456
v_mfma_f32_32x32x2_f32 a[192+0:207+0], v[vgprValuA_X4_I0+0+0+0], v[vgprValuB_X4_I0+3+0+0], a[192:207]


/* iter 5 */

/*  grEndMfmaIndex:2, lwStartMfmaIndex:37, lwEndMfmaIndex:252  */
/*  numMfmaForLR:2, barrierMfmaIndex:253, LocalWritePerMfma:0.070 */
/*  mfmaIndex:80  */
_buffer_load_b128 v[vgprG2LA+12:vgprG2LA+12+3], v[vgprGlobalReadOffsetA+0], s[sgprSrdA:sgprSrdA+3], s[sgprScalarGlobalReadOffsetA+2], offen offset:0 // G -> Reg 0_0_3_0
v_mfma_f32_32x32x2_f32 a[0+0:15+0], v[vgprValuA_X5_I0+0+0+0], v[vgprValuB_X5_I0+0+0+0], a[0:15]
/*  mfmaIndex:81  */
v_mfma_f32_32x32x2_f32 a[16+0:31+0], v[vgprValuA_X5_I0+1+0+0], v[vgprValuB_X5_I0+0+0+0], a[16:31]
/*  mfmaIndex:82  */
	;; [unrolled: 2-line block ×14, first 2 shown]
/* sched write - iter 5 writesPerItem=4 */
s_waitcnt vmcnt(0)                                 // lgkmcnt=-1 vmcnt=0wait for global read before writing to local
_ds_store_b32 v[vgprLocalWriteAddrA], v[vgprG2LA+16] offset:512 // lwoA_0_0_4_0 = (0 + 0*LSCA)*(MT0I+PAD) + (4*LSPA) = 512
_ds_store_b32 v[vgprLocalWriteAddrA], v[vgprG2LA+17] offset:1536 // lwoA_0_1_4_0 = (1 + 0*LSCA)*(MT0I+PAD) + (4*LSPA) = 1536
_ds_store_b32 v[vgprLocalWriteAddrA], v[vgprG2LA+18] offset:2560 // lwoA_0_2_4_0 = (2 + 0*LSCA)*(MT0I+PAD) + (4*LSPA) = 2560
_ds_store_b32 v[vgprLocalWriteAddrA], v[vgprG2LA+19] offset:3584 // lwoA_0_3_4_0 = (3 + 0*LSCA)*(MT0I+PAD) + (4*LSPA) = 3584
v_mfma_f32_32x32x2_f32 a[208+0:223+0], v[vgprValuA_X5_I0+1+0+0], v[vgprValuB_X5_I0+3+0+0], a[208:223]
/*  mfmaIndex:95  */
_buffer_load_b128 v[vgprG2LA+16:vgprG2LA+16+3], v[vgprGlobalReadOffsetA+0], s[sgprSrdA:sgprSrdA+3], s[sgprScalarGlobalReadOffsetA+3], offen offset:0 // G -> Reg 0_0_4_0
v_mfma_f32_32x32x2_f32 a[192+0:207+0], v[vgprValuA_X5_I0+0+0+0], v[vgprValuB_X5_I0+3+0+0], a[192:207]


/* iter 6 */

/*  grEndMfmaIndex:2, lwStartMfmaIndex:37, lwEndMfmaIndex:252  */
/*  numMfmaForLR:2, barrierMfmaIndex:253, LocalWritePerMfma:0.070 */
/*  mfmaIndex:96  */
v_mfma_f32_32x32x2_f32 a[0+0:15+0], v[vgprValuA_X6_I0+0+0+0], v[vgprValuB_X6_I0+0+0+0], a[0:15]
/*  mfmaIndex:97  */
v_mfma_f32_32x32x2_f32 a[16+0:31+0], v[vgprValuA_X6_I0+1+0+0], v[vgprValuB_X6_I0+0+0+0], a[16:31]
	;; [unrolled: 2-line block ×12, first 2 shown]
/*  mfmaIndex:108  */
/* sched write - iter 6 writesPerItem=4 */
s_waitcnt vmcnt(0)                                 // lgkmcnt=-1 vmcnt=0wait for global read before writing to local
_ds_store_b32 v[vgprLocalWriteAddrA], v[vgprG2LA+20] offset:640 // lwoA_0_0_5_0 = (0 + 0*LSCA)*(MT0I+PAD) + (5*LSPA) = 640
_ds_store_b32 v[vgprLocalWriteAddrA], v[vgprG2LA+21] offset:1664 // lwoA_0_1_5_0 = (1 + 0*LSCA)*(MT0I+PAD) + (5*LSPA) = 1664
_ds_store_b32 v[vgprLocalWriteAddrA], v[vgprG2LA+22] offset:2688 // lwoA_0_2_5_0 = (2 + 0*LSCA)*(MT0I+PAD) + (5*LSPA) = 2688
_ds_store_b32 v[vgprLocalWriteAddrA], v[vgprG2LA+23] offset:3712 // lwoA_0_3_5_0 = (3 + 0*LSCA)*(MT0I+PAD) + (5*LSPA) = 3712
v_mfma_f32_32x32x2_f32 a[240+0:255+0], v[vgprValuA_X6_I0+3+0+0], v[vgprValuB_X6_I0+3+0+0], a[240:255]
/*  mfmaIndex:109  */
_buffer_load_b128 v[vgprG2LA+20:vgprG2LA+20+3], v[vgprGlobalReadOffsetA+0], s[sgprSrdA:sgprSrdA+3], s[sgprScalarGlobalReadOffsetA+4], offen offset:0 // G -> Reg 0_0_5_0
v_mfma_f32_32x32x2_f32 a[224+0:239+0], v[vgprValuA_X6_I0+2+0+0], v[vgprValuB_X6_I0+3+0+0], a[224:239]
/*  mfmaIndex:110  */
v_mfma_f32_32x32x2_f32 a[208+0:223+0], v[vgprValuA_X6_I0+1+0+0], v[vgprValuB_X6_I0+3+0+0], a[208:223]
/*  mfmaIndex:111  */
v_mfma_f32_32x32x2_f32 a[192+0:207+0], v[vgprValuA_X6_I0+0+0+0], v[vgprValuB_X6_I0+3+0+0], a[192:207]


/* iter 7 */

/*  grEndMfmaIndex:2, lwStartMfmaIndex:37, lwEndMfmaIndex:252  */
/*  numMfmaForLR:2, barrierMfmaIndex:253, LocalWritePerMfma:0.070 */
/*  mfmaIndex:112  */
v_mfma_f32_32x32x2_f32 a[0+0:15+0], v[vgprValuA_X7_I0+0+0+0], v[vgprValuB_X7_I0+0+0+0], a[0:15]
/*  mfmaIndex:113  */
v_mfma_f32_32x32x2_f32 a[16+0:31+0], v[vgprValuA_X7_I0+1+0+0], v[vgprValuB_X7_I0+0+0+0], a[16:31]
	;; [unrolled: 2-line block ×10, first 2 shown]
/*  mfmaIndex:122  */
/* sched write - iter 7 writesPerItem=4 */
s_waitcnt vmcnt(0)                                 // lgkmcnt=-1 vmcnt=0wait for global read before writing to local
_ds_store_b32 v[vgprLocalWriteAddrA], v[vgprG2LA+24] offset:768 // lwoA_0_0_6_0 = (0 + 0*LSCA)*(MT0I+PAD) + (6*LSPA) = 768
_ds_store_b32 v[vgprLocalWriteAddrA], v[vgprG2LA+25] offset:1792 // lwoA_0_1_6_0 = (1 + 0*LSCA)*(MT0I+PAD) + (6*LSPA) = 1792
_ds_store_b32 v[vgprLocalWriteAddrA], v[vgprG2LA+26] offset:2816 // lwoA_0_2_6_0 = (2 + 0*LSCA)*(MT0I+PAD) + (6*LSPA) = 2816
_ds_store_b32 v[vgprLocalWriteAddrA], v[vgprG2LA+27] offset:3840 // lwoA_0_3_6_0 = (3 + 0*LSCA)*(MT0I+PAD) + (6*LSPA) = 3840
v_mfma_f32_32x32x2_f32 a[160+0:175+0], v[vgprValuA_X7_I0+2+0+0], v[vgprValuB_X7_I0+2+0+0], a[160:175]
/*  mfmaIndex:123  */
_buffer_load_b128 v[vgprG2LA+24:vgprG2LA+24+3], v[vgprGlobalReadOffsetA+0], s[sgprSrdA:sgprSrdA+3], s[sgprScalarGlobalReadOffsetA+5], offen offset:0 // G -> Reg 0_0_6_0
v_mfma_f32_32x32x2_f32 a[176+0:191+0], v[vgprValuA_X7_I0+3+0+0], v[vgprValuB_X7_I0+2+0+0], a[176:191]
/*  mfmaIndex:124  */
v_mfma_f32_32x32x2_f32 a[240+0:255+0], v[vgprValuA_X7_I0+3+0+0], v[vgprValuB_X7_I0+3+0+0], a[240:255]
/*  mfmaIndex:125  */
	;; [unrolled: 2-line block ×4, first 2 shown]
v_mfma_f32_32x32x2_f32 a[192+0:207+0], v[vgprValuA_X7_I0+0+0+0], v[vgprValuB_X7_I0+3+0+0], a[192:207]


/* iter 8 */

/*  grEndMfmaIndex:2, lwStartMfmaIndex:37, lwEndMfmaIndex:252  */
/*  numMfmaForLR:2, barrierMfmaIndex:253, LocalWritePerMfma:0.070 */
/*  mfmaIndex:128  */
v_mfma_f32_32x32x2_f32 a[0+0:15+0], v[vgprValuA_X8_I0+0+0+0], v[vgprValuB_X8_I0+0+0+0], a[0:15]
/*  mfmaIndex:129  */
v_mfma_f32_32x32x2_f32 a[16+0:31+0], v[vgprValuA_X8_I0+1+0+0], v[vgprValuB_X8_I0+0+0+0], a[16:31]
	;; [unrolled: 2-line block ×9, first 2 shown]
/*  mfmaIndex:137  */
/* sched write - iter 8 writesPerItem=4 */
s_waitcnt vmcnt(0)                                 // lgkmcnt=-1 vmcnt=0wait for global read before writing to local
_ds_store_b32 v[vgprLocalWriteAddrA], v[vgprG2LA+28] offset:896 // lwoA_0_0_7_0 = (0 + 0*LSCA)*(MT0I+PAD) + (7*LSPA) = 896
_ds_store_b32 v[vgprLocalWriteAddrA], v[vgprG2LA+29] offset:1920 // lwoA_0_1_7_0 = (1 + 0*LSCA)*(MT0I+PAD) + (7*LSPA) = 1920
_ds_store_b32 v[vgprLocalWriteAddrA], v[vgprG2LA+30] offset:2944 // lwoA_0_2_7_0 = (2 + 0*LSCA)*(MT0I+PAD) + (7*LSPA) = 2944
_ds_store_b32 v[vgprLocalWriteAddrA], v[vgprG2LA+31] offset:3968 // lwoA_0_3_7_0 = (3 + 0*LSCA)*(MT0I+PAD) + (7*LSPA) = 3968
v_mfma_f32_32x32x2_f32 a[144+0:159+0], v[vgprValuA_X8_I0+1+0+0], v[vgprValuB_X8_I0+2+0+0], a[144:159]
/*  mfmaIndex:138  */
_buffer_load_b128 v[vgprG2LA+28:vgprG2LA+28+3], v[vgprGlobalReadOffsetA+0], s[sgprSrdA:sgprSrdA+3], s[sgprScalarGlobalReadOffsetA+6], offen offset:0 // G -> Reg 0_0_7_0
v_mfma_f32_32x32x2_f32 a[160+0:175+0], v[vgprValuA_X8_I0+2+0+0], v[vgprValuB_X8_I0+2+0+0], a[160:175]
/*  mfmaIndex:139  */
v_mfma_f32_32x32x2_f32 a[176+0:191+0], v[vgprValuA_X8_I0+3+0+0], v[vgprValuB_X8_I0+2+0+0], a[176:191]
/*  mfmaIndex:140  */
	;; [unrolled: 2-line block ×5, first 2 shown]
v_mfma_f32_32x32x2_f32 a[192+0:207+0], v[vgprValuA_X8_I0+0+0+0], v[vgprValuB_X8_I0+3+0+0], a[192:207]


/* iter 9 */

/*  grEndMfmaIndex:2, lwStartMfmaIndex:37, lwEndMfmaIndex:252  */
/*  numMfmaForLR:2, barrierMfmaIndex:253, LocalWritePerMfma:0.070 */
/*  mfmaIndex:144  */
v_mfma_f32_32x32x2_f32 a[0+0:15+0], v[vgprValuA_X9_I0+0+0+0], v[vgprValuB_X9_I0+0+0+0], a[0:15]
/*  mfmaIndex:145  */
v_mfma_f32_32x32x2_f32 a[16+0:31+0], v[vgprValuA_X9_I0+1+0+0], v[vgprValuB_X9_I0+0+0+0], a[16:31]
	;; [unrolled: 2-line block ×7, first 2 shown]
/*  mfmaIndex:151  */
/* sched write - iter 9 writesPerItem=4 */
s_waitcnt vmcnt(0)                                 // lgkmcnt=-1 vmcnt=0wait for global read before writing to local
_ds_store_b32 v[vgprLocalWriteAddrB], v[vgprG2LB+0] offset:0 // lwoB_0_0_0_0 = (0 + 0*LSCB)*(MT1J+PAD) + (0*LSPB) = 0
_ds_store_b32 v[vgprLocalWriteAddrB], v[vgprG2LB+1] offset:1024 // lwoB_0_1_0_0 = (1 + 0*LSCB)*(MT1J+PAD) + (0*LSPB) = 1024
_ds_store_b32 v[vgprLocalWriteAddrB], v[vgprG2LB+2] offset:2048 // lwoB_0_2_0_0 = (2 + 0*LSCB)*(MT1J+PAD) + (0*LSPB) = 2048
_ds_store_b32 v[vgprLocalWriteAddrB], v[vgprG2LB+3] offset:3072 // lwoB_0_3_0_0 = (3 + 0*LSCB)*(MT1J+PAD) + (0*LSPB) = 3072
v_mfma_f32_32x32x2_f32 a[64+0:79+0], v[vgprValuA_X9_I0+0+0+0], v[vgprValuB_X9_I0+1+0+0], a[64:79]
/*  mfmaIndex:152  */
_buffer_load_b128 v[vgprG2LB+0:vgprG2LB+0+3], v[vgprGlobalReadOffsetB+0], s[sgprSrdB:sgprSrdB+3], 0, offen offset:0 // G -> Reg 0_0_0_0
v_mfma_f32_32x32x2_f32 a[128+0:143+0], v[vgprValuA_X9_I0+0+0+0], v[vgprValuB_X9_I0+2+0+0], a[128:143]
/*  mfmaIndex:153  */
v_mfma_f32_32x32x2_f32 a[144+0:159+0], v[vgprValuA_X9_I0+1+0+0], v[vgprValuB_X9_I0+2+0+0], a[144:159]
/*  mfmaIndex:154  */
	;; [unrolled: 2-line block ×7, first 2 shown]
v_mfma_f32_32x32x2_f32 a[192+0:207+0], v[vgprValuA_X9_I0+0+0+0], v[vgprValuB_X9_I0+3+0+0], a[192:207]


/* iter 10 */

/*  grEndMfmaIndex:2, lwStartMfmaIndex:37, lwEndMfmaIndex:252  */
/*  numMfmaForLR:2, barrierMfmaIndex:253, LocalWritePerMfma:0.070 */
/*  mfmaIndex:160  */
v_mfma_f32_32x32x2_f32 a[0+0:15+0], v[vgprValuA_X10_I0+0+0+0], v[vgprValuB_X10_I0+0+0+0], a[0:15]
/*  mfmaIndex:161  */
v_mfma_f32_32x32x2_f32 a[16+0:31+0], v[vgprValuA_X10_I0+1+0+0], v[vgprValuB_X10_I0+0+0+0], a[16:31]
	;; [unrolled: 2-line block ×5, first 2 shown]
/*  mfmaIndex:165  */
/* sched write - iter 10 writesPerItem=4 */
s_waitcnt vmcnt(0)                                 // lgkmcnt=-1 vmcnt=0wait for global read before writing to local
_ds_store_b32 v[vgprLocalWriteAddrB], v[vgprG2LB+4] offset:128 // lwoB_0_0_1_0 = (0 + 0*LSCB)*(MT1J+PAD) + (1*LSPB) = 128
_ds_store_b32 v[vgprLocalWriteAddrB], v[vgprG2LB+5] offset:1152 // lwoB_0_1_1_0 = (1 + 0*LSCB)*(MT1J+PAD) + (1*LSPB) = 1152
_ds_store_b32 v[vgprLocalWriteAddrB], v[vgprG2LB+6] offset:2176 // lwoB_0_2_1_0 = (2 + 0*LSCB)*(MT1J+PAD) + (1*LSPB) = 2176
_ds_store_b32 v[vgprLocalWriteAddrB], v[vgprG2LB+7] offset:3200 // lwoB_0_3_1_0 = (3 + 0*LSCB)*(MT1J+PAD) + (1*LSPB) = 3200
v_mfma_f32_32x32x2_f32 a[96+0:111+0], v[vgprValuA_X10_I0+2+0+0], v[vgprValuB_X10_I0+1+0+0], a[96:111]
/*  mfmaIndex:166  */
_buffer_load_b128 v[vgprG2LB+4:vgprG2LB+4+3], v[vgprGlobalReadOffsetB+0], s[sgprSrdB:sgprSrdB+3], s[sgprScalarGlobalReadOffsetB+0], offen offset:0 // G -> Reg 0_0_1_0
v_mfma_f32_32x32x2_f32 a[80+0:95+0], v[vgprValuA_X10_I0+1+0+0], v[vgprValuB_X10_I0+1+0+0], a[80:95]
/*  mfmaIndex:167  */
v_mfma_f32_32x32x2_f32 a[64+0:79+0], v[vgprValuA_X10_I0+0+0+0], v[vgprValuB_X10_I0+1+0+0], a[64:79]
/*  mfmaIndex:168  */
	;; [unrolled: 2-line block ×9, first 2 shown]
v_mfma_f32_32x32x2_f32 a[192+0:207+0], v[vgprValuA_X10_I0+0+0+0], v[vgprValuB_X10_I0+3+0+0], a[192:207]


/* iter 11 */

/*  grEndMfmaIndex:2, lwStartMfmaIndex:37, lwEndMfmaIndex:252  */
/*  numMfmaForLR:2, barrierMfmaIndex:253, LocalWritePerMfma:0.070 */
/*  mfmaIndex:176  */
v_mfma_f32_32x32x2_f32 a[0+0:15+0], v[vgprValuA_X11_I0+0+0+0], v[vgprValuB_X11_I0+0+0+0], a[0:15]
/*  mfmaIndex:177  */
v_mfma_f32_32x32x2_f32 a[16+0:31+0], v[vgprValuA_X11_I0+1+0+0], v[vgprValuB_X11_I0+0+0+0], a[16:31]
	;; [unrolled: 2-line block ×3, first 2 shown]
/*  mfmaIndex:179  */
/* sched write - iter 11 writesPerItem=4 */
s_waitcnt vmcnt(0)                                 // lgkmcnt=-1 vmcnt=0wait for global read before writing to local
_ds_store_b32 v[vgprLocalWriteAddrB], v[vgprG2LB+8] offset:256 // lwoB_0_0_2_0 = (0 + 0*LSCB)*(MT1J+PAD) + (2*LSPB) = 256
_ds_store_b32 v[vgprLocalWriteAddrB], v[vgprG2LB+9] offset:1280 // lwoB_0_1_2_0 = (1 + 0*LSCB)*(MT1J+PAD) + (2*LSPB) = 1280
_ds_store_b32 v[vgprLocalWriteAddrB], v[vgprG2LB+10] offset:2304 // lwoB_0_2_2_0 = (2 + 0*LSCB)*(MT1J+PAD) + (2*LSPB) = 2304
_ds_store_b32 v[vgprLocalWriteAddrB], v[vgprG2LB+11] offset:3328 // lwoB_0_3_2_0 = (3 + 0*LSCB)*(MT1J+PAD) + (2*LSPB) = 3328
v_mfma_f32_32x32x2_f32 a[48+0:63+0], v[vgprValuA_X11_I0+3+0+0], v[vgprValuB_X11_I0+0+0+0], a[48:63]
/*  mfmaIndex:180  */
_buffer_load_b128 v[vgprG2LB+8:vgprG2LB+8+3], v[vgprGlobalReadOffsetB+0], s[sgprSrdB:sgprSrdB+3], s[sgprScalarGlobalReadOffsetB+1], offen offset:0 // G -> Reg 0_0_2_0
v_mfma_f32_32x32x2_f32 a[112+0:127+0], v[vgprValuA_X11_I0+3+0+0], v[vgprValuB_X11_I0+1+0+0], a[112:127]
/*  mfmaIndex:181  */
v_mfma_f32_32x32x2_f32 a[96+0:111+0], v[vgprValuA_X11_I0+2+0+0], v[vgprValuB_X11_I0+1+0+0], a[96:111]
/*  mfmaIndex:182  */
	;; [unrolled: 2-line block ×11, first 2 shown]
v_mfma_f32_32x32x2_f32 a[192+0:207+0], v[vgprValuA_X11_I0+0+0+0], v[vgprValuB_X11_I0+3+0+0], a[192:207]


/* iter 12 */

/*  grEndMfmaIndex:2, lwStartMfmaIndex:37, lwEndMfmaIndex:252  */
/*  numMfmaForLR:2, barrierMfmaIndex:253, LocalWritePerMfma:0.070 */
/*  mfmaIndex:192  */
v_mfma_f32_32x32x2_f32 a[0+0:15+0], v[vgprValuA_X12_I0+0+0+0], v[vgprValuB_X12_I0+0+0+0], a[0:15]
/*  mfmaIndex:193  */
v_mfma_f32_32x32x2_f32 a[16+0:31+0], v[vgprValuA_X12_I0+1+0+0], v[vgprValuB_X12_I0+0+0+0], a[16:31]
/*  mfmaIndex:194  */
/* sched write - iter 12 writesPerItem=4 */
s_waitcnt vmcnt(0)                                 // lgkmcnt=-1 vmcnt=0wait for global read before writing to local
_ds_store_b32 v[vgprLocalWriteAddrB], v[vgprG2LB+12] offset:384 // lwoB_0_0_3_0 = (0 + 0*LSCB)*(MT1J+PAD) + (3*LSPB) = 384
_ds_store_b32 v[vgprLocalWriteAddrB], v[vgprG2LB+13] offset:1408 // lwoB_0_1_3_0 = (1 + 0*LSCB)*(MT1J+PAD) + (3*LSPB) = 1408
_ds_store_b32 v[vgprLocalWriteAddrB], v[vgprG2LB+14] offset:2432 // lwoB_0_2_3_0 = (2 + 0*LSCB)*(MT1J+PAD) + (3*LSPB) = 2432
_ds_store_b32 v[vgprLocalWriteAddrB], v[vgprG2LB+15] offset:3456 // lwoB_0_3_3_0 = (3 + 0*LSCB)*(MT1J+PAD) + (3*LSPB) = 3456
v_mfma_f32_32x32x2_f32 a[32+0:47+0], v[vgprValuA_X12_I0+2+0+0], v[vgprValuB_X12_I0+0+0+0], a[32:47]
/*  mfmaIndex:195  */
_buffer_load_b128 v[vgprG2LB+12:vgprG2LB+12+3], v[vgprGlobalReadOffsetB+0], s[sgprSrdB:sgprSrdB+3], s[sgprScalarGlobalReadOffsetB+2], offen offset:0 // G -> Reg 0_0_3_0
v_mfma_f32_32x32x2_f32 a[48+0:63+0], v[vgprValuA_X12_I0+3+0+0], v[vgprValuB_X12_I0+0+0+0], a[48:63]
/*  mfmaIndex:196  */
v_mfma_f32_32x32x2_f32 a[112+0:127+0], v[vgprValuA_X12_I0+3+0+0], v[vgprValuB_X12_I0+1+0+0], a[112:127]
/*  mfmaIndex:197  */
v_mfma_f32_32x32x2_f32 a[96+0:111+0], v[vgprValuA_X12_I0+2+0+0], v[vgprValuB_X12_I0+1+0+0], a[96:111]
/*  mfmaIndex:198  */
v_mfma_f32_32x32x2_f32 a[80+0:95+0], v[vgprValuA_X12_I0+1+0+0], v[vgprValuB_X12_I0+1+0+0], a[80:95]
/*  mfmaIndex:199  */
v_mfma_f32_32x32x2_f32 a[64+0:79+0], v[vgprValuA_X12_I0+0+0+0], v[vgprValuB_X12_I0+1+0+0], a[64:79]
/*  mfmaIndex:200  */
v_mfma_f32_32x32x2_f32 a[128+0:143+0], v[vgprValuA_X12_I0+0+0+0], v[vgprValuB_X12_I0+2+0+0], a[128:143]
/*  mfmaIndex:201  */
v_mfma_f32_32x32x2_f32 a[144+0:159+0], v[vgprValuA_X12_I0+1+0+0], v[vgprValuB_X12_I0+2+0+0], a[144:159]
/*  mfmaIndex:202  */
v_mfma_f32_32x32x2_f32 a[160+0:175+0], v[vgprValuA_X12_I0+2+0+0], v[vgprValuB_X12_I0+2+0+0], a[160:175]
/*  mfmaIndex:203  */
v_mfma_f32_32x32x2_f32 a[176+0:191+0], v[vgprValuA_X12_I0+3+0+0], v[vgprValuB_X12_I0+2+0+0], a[176:191]
/*  mfmaIndex:204  */
v_mfma_f32_32x32x2_f32 a[240+0:255+0], v[vgprValuA_X12_I0+3+0+0], v[vgprValuB_X12_I0+3+0+0], a[240:255]
/*  mfmaIndex:205  */
v_mfma_f32_32x32x2_f32 a[224+0:239+0], v[vgprValuA_X12_I0+2+0+0], v[vgprValuB_X12_I0+3+0+0], a[224:239]
/*  mfmaIndex:206  */
v_mfma_f32_32x32x2_f32 a[208+0:223+0], v[vgprValuA_X12_I0+1+0+0], v[vgprValuB_X12_I0+3+0+0], a[208:223]
/*  mfmaIndex:207  */
v_mfma_f32_32x32x2_f32 a[192+0:207+0], v[vgprValuA_X12_I0+0+0+0], v[vgprValuB_X12_I0+3+0+0], a[192:207]


/* iter 13 */

/*  grEndMfmaIndex:2, lwStartMfmaIndex:37, lwEndMfmaIndex:252  */
/*  numMfmaForLR:2, barrierMfmaIndex:253, LocalWritePerMfma:0.070 */
/*  mfmaIndex:208  */
/* sched write - iter 13 writesPerItem=4 */
s_waitcnt vmcnt(0)                                 // lgkmcnt=-1 vmcnt=0wait for global read before writing to local
_ds_store_b32 v[vgprLocalWriteAddrB], v[vgprG2LB+16] offset:512 // lwoB_0_0_4_0 = (0 + 0*LSCB)*(MT1J+PAD) + (4*LSPB) = 512
_ds_store_b32 v[vgprLocalWriteAddrB], v[vgprG2LB+17] offset:1536 // lwoB_0_1_4_0 = (1 + 0*LSCB)*(MT1J+PAD) + (4*LSPB) = 1536
_ds_store_b32 v[vgprLocalWriteAddrB], v[vgprG2LB+18] offset:2560 // lwoB_0_2_4_0 = (2 + 0*LSCB)*(MT1J+PAD) + (4*LSPB) = 2560
_ds_store_b32 v[vgprLocalWriteAddrB], v[vgprG2LB+19] offset:3584 // lwoB_0_3_4_0 = (3 + 0*LSCB)*(MT1J+PAD) + (4*LSPB) = 3584
v_mfma_f32_32x32x2_f32 a[0+0:15+0], v[vgprValuA_X13_I0+0+0+0], v[vgprValuB_X13_I0+0+0+0], a[0:15]
/*  mfmaIndex:209  */
_buffer_load_b128 v[vgprG2LB+16:vgprG2LB+16+3], v[vgprGlobalReadOffsetB+0], s[sgprSrdB:sgprSrdB+3], s[sgprScalarGlobalReadOffsetB+3], offen offset:0 // G -> Reg 0_0_4_0
v_mfma_f32_32x32x2_f32 a[16+0:31+0], v[vgprValuA_X13_I0+1+0+0], v[vgprValuB_X13_I0+0+0+0], a[16:31]
/*  mfmaIndex:210  */
v_mfma_f32_32x32x2_f32 a[32+0:47+0], v[vgprValuA_X13_I0+2+0+0], v[vgprValuB_X13_I0+0+0+0], a[32:47]
/*  mfmaIndex:211  */
	;; [unrolled: 2-line block ×13, first 2 shown]
/* sched write - iter 13 writesPerItem=4 */
s_waitcnt vmcnt(0)                                 // lgkmcnt=-1 vmcnt=0wait for global read before writing to local
_ds_store_b32 v[vgprLocalWriteAddrB], v[vgprG2LB+20] offset:640 // lwoB_0_0_5_0 = (0 + 0*LSCB)*(MT1J+PAD) + (5*LSPB) = 640
_ds_store_b32 v[vgprLocalWriteAddrB], v[vgprG2LB+21] offset:1664 // lwoB_0_1_5_0 = (1 + 0*LSCB)*(MT1J+PAD) + (5*LSPB) = 1664
_ds_store_b32 v[vgprLocalWriteAddrB], v[vgprG2LB+22] offset:2688 // lwoB_0_2_5_0 = (2 + 0*LSCB)*(MT1J+PAD) + (5*LSPB) = 2688
_ds_store_b32 v[vgprLocalWriteAddrB], v[vgprG2LB+23] offset:3712 // lwoB_0_3_5_0 = (3 + 0*LSCB)*(MT1J+PAD) + (5*LSPB) = 3712
v_mfma_f32_32x32x2_f32 a[208+0:223+0], v[vgprValuA_X13_I0+1+0+0], v[vgprValuB_X13_I0+3+0+0], a[208:223]
/*  mfmaIndex:223  */
_buffer_load_b128 v[vgprG2LB+20:vgprG2LB+20+3], v[vgprGlobalReadOffsetB+0], s[sgprSrdB:sgprSrdB+3], s[sgprScalarGlobalReadOffsetB+4], offen offset:0 // G -> Reg 0_0_5_0
v_mfma_f32_32x32x2_f32 a[192+0:207+0], v[vgprValuA_X13_I0+0+0+0], v[vgprValuB_X13_I0+3+0+0], a[192:207]


/* iter 14 (reset local read pointers iteration)  (swap local read pointers iteration)  */

/*  grEndMfmaIndex:2, lwStartMfmaIndex:37, lwEndMfmaIndex:252  */
/*  numMfmaForLR:2, barrierMfmaIndex:253, LocalWritePerMfma:0.070 */
/*  mfmaIndex:224  */
v_mfma_f32_32x32x2_f32 a[0+0:15+0], v[vgprValuA_X14_I0+0+0+0], v[vgprValuB_X14_I0+0+0+0], a[0:15]
/*  mfmaIndex:225  */
v_mfma_f32_32x32x2_f32 a[16+0:31+0], v[vgprValuA_X14_I0+1+0+0], v[vgprValuB_X14_I0+0+0+0], a[16:31]
	;; [unrolled: 2-line block ×13, first 2 shown]
/*  mfmaIndex:237  */
/* sched write - iter 14 writesPerItem=4 */
s_waitcnt vmcnt(0)                                 // lgkmcnt=-1 vmcnt=0wait for global read before writing to local
_ds_store_b32 v[vgprLocalWriteAddrB], v[vgprG2LB+24] offset:768 // lwoB_0_0_6_0 = (0 + 0*LSCB)*(MT1J+PAD) + (6*LSPB) = 768
_ds_store_b32 v[vgprLocalWriteAddrB], v[vgprG2LB+25] offset:1792 // lwoB_0_1_6_0 = (1 + 0*LSCB)*(MT1J+PAD) + (6*LSPB) = 1792
_ds_store_b32 v[vgprLocalWriteAddrB], v[vgprG2LB+26] offset:2816 // lwoB_0_2_6_0 = (2 + 0*LSCB)*(MT1J+PAD) + (6*LSPB) = 2816
_ds_store_b32 v[vgprLocalWriteAddrB], v[vgprG2LB+27] offset:3840 // lwoB_0_3_6_0 = (3 + 0*LSCB)*(MT1J+PAD) + (6*LSPB) = 3840
v_mfma_f32_32x32x2_f32 a[224+0:239+0], v[vgprValuA_X14_I0+2+0+0], v[vgprValuB_X14_I0+3+0+0], a[224:239]
/*  mfmaIndex:238  */
_buffer_load_b128 v[vgprG2LB+24:vgprG2LB+24+3], v[vgprGlobalReadOffsetB+0], s[sgprSrdB:sgprSrdB+3], s[sgprScalarGlobalReadOffsetB+5], offen offset:0 // G -> Reg 0_0_6_0
v_mfma_f32_32x32x2_f32 a[208+0:223+0], v[vgprValuA_X14_I0+1+0+0], v[vgprValuB_X14_I0+3+0+0], a[208:223]
/*  mfmaIndex:239  */

/* local read swap offsets a */

/* local read swap offsets b */

/* local read init pointers a */

/* localReadInitPointers */

/* local read init pointers b */

/* localReadInitPointers */
v_mfma_f32_32x32x2_f32 a[192+0:207+0], v[vgprValuA_X14_I0+0+0+0], v[vgprValuB_X14_I0+3+0+0], a[192:207]


/* iter 15 (swap and reset local write pointers iteration)  */

/*  grEndMfmaIndex:2, lwStartMfmaIndex:37, lwEndMfmaIndex:252  */
/*  numMfmaForLR:2, barrierMfmaIndex:253, LocalWritePerMfma:0.070 */
/*  mfmaIndex:240  */
v_mfma_f32_32x32x2_f32 a[0+0:15+0], v[vgprValuA_X15_I0+0+0+0], v[vgprValuB_X15_I0+0+0+0], a[0:15]
/*  mfmaIndex:241  */
v_mfma_f32_32x32x2_f32 a[16+0:31+0], v[vgprValuA_X15_I0+1+0+0], v[vgprValuB_X15_I0+0+0+0], a[16:31]
	;; [unrolled: 2-line block ×11, first 2 shown]
/*  mfmaIndex:251  */
/* sched write - iter 15 writesPerItem=4 */
s_waitcnt vmcnt(0)                                 // lgkmcnt=-1 vmcnt=0wait for global read before writing to local
_ds_store_b32 v[vgprLocalWriteAddrB], v[vgprG2LB+28] offset:896 // lwoB_0_0_7_0 = (0 + 0*LSCB)*(MT1J+PAD) + (7*LSPB) = 896
_ds_store_b32 v[vgprLocalWriteAddrB], v[vgprG2LB+29] offset:1920 // lwoB_0_1_7_0 = (1 + 0*LSCB)*(MT1J+PAD) + (7*LSPB) = 1920
_ds_store_b32 v[vgprLocalWriteAddrB], v[vgprG2LB+30] offset:2944 // lwoB_0_2_7_0 = (2 + 0*LSCB)*(MT1J+PAD) + (7*LSPB) = 2944
_ds_store_b32 v[vgprLocalWriteAddrB], v[vgprG2LB+31] offset:3968 // lwoB_0_3_7_0 = (3 + 0*LSCB)*(MT1J+PAD) + (7*LSPB) = 3968
v_mfma_f32_32x32x2_f32 a[176+0:191+0], v[vgprValuA_X15_I0+3+0+0], v[vgprValuB_X15_I0+2+0+0], a[176:191]
/*  mfmaIndex:252  */
_buffer_load_b128 v[vgprG2LB+28:vgprG2LB+28+3], v[vgprGlobalReadOffsetB+0], s[sgprSrdB:sgprSrdB+3], s[sgprScalarGlobalReadOffsetB+6], offen offset:0 // G -> Reg 0_0_7_0

/* local write swap offsets a */

/* local write swap offsets b */
v_mfma_f32_32x32x2_f32 a[240+0:255+0], v[vgprValuA_X15_I0+3+0+0], v[vgprValuB_X15_I0+3+0+0], a[240:255]
s_setprio 0                                        // store optimization
/*  mfmaIndex:253  */
s_waitcnt lgkmcnt(0)                               // lgkmcnt=0 vmcnt=-13wait for local write
// Skip force waitcnt0
s_barrier //
v_mfma_f32_32x32x2_f32 a[224+0:239+0], v[vgprValuA_X15_I0+2+0+0], v[vgprValuB_X15_I0+3+0+0], a[224:239]
/*  mfmaIndex:254  */
s_setprio 3                                        // store optimization
_ds_load_b32 v[vgprValuA_X0_I0+0], v[vgprLocalReadAddrA] offset:0 // L -> Reg lro=0 swapByteOffset=0 ti=128 vIdx=0 rIdx=0 oIdx=0 buffer=0 iui=0
_ds_load_b32 v[vgprValuB_X0_I0+0], v[vgprLocalReadAddrB] offset:0 // L -> Reg lro=0 swapByteOffset=0 ti=64 vIdx=0 rIdx=0 oIdx=0 buffer=0 iui=0
_ds_load_b32 v[vgprValuA_X0_I0+1], v[vgprLocalReadAddrA] offset:4 // L -> Reg lro=0 swapByteOffset=0 ti=128 vIdx=0 rIdx=0 oIdx=0 buffer=0 iui=0
_ds_load_b32 v[vgprValuA_X0_I0+2], v[vgprLocalReadAddrA] offset:512 // L -> Reg lro=0 swapByteOffset=0 ti=128 vIdx=1 rIdx=0 oIdx=0 buffer=0 iui=0
	;; [unrolled: 1-line block ×3, first 2 shown]
_ds_load_b32 v[vgprValuB_X0_I0+1], v[vgprLocalReadAddrB] offset:256 // L -> Reg lro=0 swapByteOffset=0 ti=64 vIdx=1 rIdx=0 oIdx=0 buffer=0 iui=0
v_mfma_f32_32x32x2_f32 a[208+0:223+0], v[vgprValuA_X15_I0+1+0+0], v[vgprValuB_X15_I0+3+0+0], a[208:223]
/*  mfmaIndex:255  */
_ds_load_b32 v[vgprValuB_X0_I0+2], v[vgprLocalReadAddrB] offset:512 // L -> Reg lro=0 swapByteOffset=0 ti=64 vIdx=2 rIdx=0 oIdx=0 buffer=0 iui=0
_ds_load_b32 v[vgprValuB_X0_I0+3], v[vgprLocalReadAddrB] offset:768 // L -> Reg lro=0 swapByteOffset=0 ti=64 vIdx=3 rIdx=0 oIdx=0 buffer=0 iui=0
v_mfma_f32_32x32x2_f32 a[192+0:207+0], v[vgprValuA_X15_I0+0+0+0], v[vgprValuB_X15_I0+3+0+0], a[192:207]
s_setprio 0                                        // store optimization


/******************************************/
/* Unrolled Loop - End 2/2 (final)        */
/******************************************/


/* closeLoop loopL finalLoop=1 tailLoop=0 */
s_sub_u32 s[sgprLoopCounterL], s[sgprLoopCounterL], 1 // dec counterL
s_cmp_eq_i32 s[sgprLoopCounterL], 0x2              // counterL==2
s_cbranch_scc0 LoopBeginL_1                        // restart LoopL
LoopEndL_evenexit_4: // unroll loop eveniter exit
s_branch LoopEndL_2                                // exit unroll loopL (and skip second exit code)
LoopEndL_oddexit_3: // unroll loop odditer exit

/* Select high bank of LDS */
LoopEndL_2:


/* Before NLL: Check VGPR.checkin for INT8 LW */


/******************************************/
/* Ord. NoGlobalLoadLoop - Begin                                      */
/******************************************/


	;; [unrolled: 1-line block ×3, first 2 shown]
/* iter 0 */

/*  grEndMfmaIndex:2, lwStartMfmaIndex:37, lwEndMfmaIndex:252  */
/*  numMfmaForLR:2, barrierMfmaIndex:253, LocalWritePerMfma:0.070 */
/*  mfmaIndex:0  */
s_waitcnt lgkmcnt(0)                               // lgkmcnt=0 vmcnt=-1wait for prior local read local write old=0, new=0 newLW=0 newLR=0
v_mfma_f32_32x32x2_f32 a[0+0:15+0], v[vgprValuA_X0_I0+0+0+0], v[vgprValuB_X0_I0+0+0+0], a[0:15]
/*  mfmaIndex:1  */
_ds_load_b32 v[vgprValuA_X1_I0+0], v[vgprLocalReadAddrA] offset:2048 // L -> Reg lro=512 swapByteOffset=0 ti=128 vIdx=0 rIdx=0 oIdx=0 buffer=1 iui=0
_ds_load_b32 v[vgprValuB_X1_I0+0], v[vgprLocalReadAddrB] offset:2048 // L -> Reg lro=512 swapByteOffset=0 ti=64 vIdx=0 rIdx=0 oIdx=0 buffer=1 iui=0
_ds_load_b32 v[vgprValuA_X1_I0+1], v[vgprLocalReadAddrA] offset:2052 // L -> Reg lro=512 swapByteOffset=0 ti=128 vIdx=0 rIdx=0 oIdx=0 buffer=1 iui=0
_ds_load_b32 v[vgprValuA_X1_I0+2], v[vgprLocalReadAddrA] offset:2560 // L -> Reg lro=512 swapByteOffset=0 ti=128 vIdx=1 rIdx=0 oIdx=0 buffer=1 iui=0
	;; [unrolled: 1-line block ×3, first 2 shown]
_ds_load_b32 v[vgprValuB_X1_I0+1], v[vgprLocalReadAddrB] offset:2304 // L -> Reg lro=512 swapByteOffset=0 ti=64 vIdx=1 rIdx=0 oIdx=0 buffer=1 iui=0

/* global read inc A loopL */
s_add_u32 s[sgprSrdA+0], s[sgprSrdA+0], s[sgprGlobalReadIncsA+0] // gra SRD += inc(lower)
s_addc_u32  s[sgprSrdA+1], s[sgprSrdA+1], 0        // gra SRD += inc(upper)
s_sub_u32 s[sgprShadowLimitA+0], s[sgprShadowLimitA+0], s[sgprGlobalReadIncsA+0] // limit -= inc)
s_subb_u32 s[sgprShadowLimitA+1], s[sgprShadowLimitA+1], 0 // limit -= inc)
s_cmp_eq_u32 s[sgprShadowLimitA+1], 0              // are we within 2^32?
s_cmov_b32 s[sgprSrdA+2], s[sgprShadowLimitA+0]    // Move shadow to real if we are within 2^32

/* global read inc B loopL */
s_add_u32 s[sgprSrdB+0], s[sgprSrdB+0], s[sgprGlobalReadIncsB+0] // gra SRD += inc(lower)
v_mfma_f32_32x32x2_f32 a[16+0:31+0], v[vgprValuA_X0_I0+1+0+0], v[vgprValuB_X0_I0+0+0+0], a[16:31]
/*  mfmaIndex:2  */
_ds_load_b32 v[vgprValuB_X1_I0+2], v[vgprLocalReadAddrB] offset:2560 // L -> Reg lro=512 swapByteOffset=0 ti=64 vIdx=2 rIdx=0 oIdx=0 buffer=1 iui=0
_ds_load_b32 v[vgprValuB_X1_I0+3], v[vgprLocalReadAddrB] offset:2816 // L -> Reg lro=512 swapByteOffset=0 ti=64 vIdx=3 rIdx=0 oIdx=0 buffer=1 iui=0
/* localReadsVacancy: latencyLeft 9 */
_ds_load_b32 v[vgprValuA_X2_I0+0], v[vgprLocalReadAddrA] offset:4096 // L -> Reg lro=1024 swapByteOffset=0 ti=128 vIdx=0 rIdx=0 oIdx=0 buffer=2 iui=0
_ds_load_b32 v[vgprValuB_X2_I0+0], v[vgprLocalReadAddrB] offset:4096 // L -> Reg lro=1024 swapByteOffset=0 ti=64 vIdx=0 rIdx=0 oIdx=0 buffer=2 iui=0
_ds_load_b32 v[vgprValuA_X2_I0+1], v[vgprLocalReadAddrA] offset:4100 // L -> Reg lro=1024 swapByteOffset=0 ti=128 vIdx=0 rIdx=0 oIdx=0 buffer=2 iui=0
_ds_load_b32 v[vgprValuA_X2_I0+2], v[vgprLocalReadAddrA] offset:4608 // L -> Reg lro=1024 swapByteOffset=0 ti=128 vIdx=1 rIdx=0 oIdx=0 buffer=2 iui=0
s_addc_u32  s[sgprSrdB+1], s[sgprSrdB+1], 0        // gra SRD += inc(upper)
s_sub_u32 s[sgprShadowLimitB+0], s[sgprShadowLimitB+0], s[sgprGlobalReadIncsB+0] // limit -= inc)
s_subb_u32 s[sgprShadowLimitB+1], s[sgprShadowLimitB+1], 0 // limit -= inc)
s_cmp_eq_u32 s[sgprShadowLimitB+1], 0              // are we within 2^32?
s_cmov_b32 s[sgprSrdB+2], s[sgprShadowLimitB+0]    // Move shadow to real if we are within 2^32
v_mfma_f32_32x32x2_f32 a[32+0:47+0], v[vgprValuA_X0_I0+2+0+0], v[vgprValuB_X0_I0+0+0+0], a[32:47]
/*  mfmaIndex:3  */
/* localReadsVacancy: latencyLeft 13 */
_ds_load_b32 v[vgprValuA_X2_I0+3], v[vgprLocalReadAddrA] offset:4612 // L -> Reg lro=1024 swapByteOffset=0 ti=128 vIdx=1 rIdx=0 oIdx=0 buffer=2 iui=0
_ds_load_b32 v[vgprValuB_X2_I0+1], v[vgprLocalReadAddrB] offset:4352 // L -> Reg lro=1024 swapByteOffset=0 ti=64 vIdx=1 rIdx=0 oIdx=0 buffer=2 iui=0
_ds_load_b32 v[vgprValuB_X2_I0+2], v[vgprLocalReadAddrB] offset:4608 // L -> Reg lro=1024 swapByteOffset=0 ti=64 vIdx=2 rIdx=0 oIdx=0 buffer=2 iui=0
	;; [unrolled: 1-line block ×3, first 2 shown]
_ds_load_b32 v[vgprValuA_X3_I0+0], v[vgprLocalReadAddrA] offset:6144 // L -> Reg lro=1536 swapByteOffset=0 ti=128 vIdx=0 rIdx=0 oIdx=0 buffer=3 iui=0
_ds_load_b32 v[vgprValuB_X3_I0+0], v[vgprLocalReadAddrB] offset:6144 // L -> Reg lro=1536 swapByteOffset=0 ti=64 vIdx=0 rIdx=0 oIdx=0 buffer=3 iui=0
v_mfma_f32_32x32x2_f32 a[48+0:63+0], v[vgprValuA_X0_I0+3+0+0], v[vgprValuB_X0_I0+0+0+0], a[48:63]
/*  mfmaIndex:4  */
/* localReadsVacancy: latencyLeft 13 */
_ds_load_b32 v[vgprValuA_X3_I0+1], v[vgprLocalReadAddrA] offset:6148 // L -> Reg lro=1536 swapByteOffset=0 ti=128 vIdx=0 rIdx=0 oIdx=0 buffer=3 iui=0
_ds_load_b32 v[vgprValuA_X3_I0+2], v[vgprLocalReadAddrA] offset:6656 // L -> Reg lro=1536 swapByteOffset=0 ti=128 vIdx=1 rIdx=0 oIdx=0 buffer=3 iui=0
	;; [unrolled: 1-line block ×3, first 2 shown]
_ds_load_b32 v[vgprValuB_X3_I0+1], v[vgprLocalReadAddrB] offset:6400 // L -> Reg lro=1536 swapByteOffset=0 ti=64 vIdx=1 rIdx=0 oIdx=0 buffer=3 iui=0
_ds_load_b32 v[vgprValuB_X3_I0+2], v[vgprLocalReadAddrB] offset:6656 // L -> Reg lro=1536 swapByteOffset=0 ti=64 vIdx=2 rIdx=0 oIdx=0 buffer=3 iui=0
	;; [unrolled: 1-line block ×3, first 2 shown]
v_mfma_f32_32x32x2_f32 a[112+0:127+0], v[vgprValuA_X0_I0+3+0+0], v[vgprValuB_X0_I0+1+0+0], a[112:127]
/*  mfmaIndex:5  */
/* localReadsVacancy: latencyLeft 13 */
_ds_load_b32 v[vgprValuA_X4_I0+0], v[vgprLocalReadAddrA] offset:8192 // L -> Reg lro=2048 swapByteOffset=0 ti=128 vIdx=0 rIdx=0 oIdx=0 buffer=4 iui=0
_ds_load_b32 v[vgprValuB_X4_I0+0], v[vgprLocalReadAddrB] offset:8192 // L -> Reg lro=2048 swapByteOffset=0 ti=64 vIdx=0 rIdx=0 oIdx=0 buffer=4 iui=0
_ds_load_b32 v[vgprValuA_X4_I0+1], v[vgprLocalReadAddrA] offset:8196 // L -> Reg lro=2048 swapByteOffset=0 ti=128 vIdx=0 rIdx=0 oIdx=0 buffer=4 iui=0
_ds_load_b32 v[vgprValuA_X4_I0+2], v[vgprLocalReadAddrA] offset:8704 // L -> Reg lro=2048 swapByteOffset=0 ti=128 vIdx=1 rIdx=0 oIdx=0 buffer=4 iui=0
	;; [unrolled: 1-line block ×3, first 2 shown]
_ds_load_b32 v[vgprValuB_X4_I0+1], v[vgprLocalReadAddrB] offset:8448 // L -> Reg lro=2048 swapByteOffset=0 ti=64 vIdx=1 rIdx=0 oIdx=0 buffer=4 iui=0
v_mfma_f32_32x32x2_f32 a[96+0:111+0], v[vgprValuA_X0_I0+2+0+0], v[vgprValuB_X0_I0+1+0+0], a[96:111]
/*  mfmaIndex:6  */
/* localReadsVacancy: latencyLeft 13 */
_ds_load_b32 v[vgprValuB_X4_I0+2], v[vgprLocalReadAddrB] offset:8704 // L -> Reg lro=2048 swapByteOffset=0 ti=64 vIdx=2 rIdx=0 oIdx=0 buffer=4 iui=0
_ds_load_b32 v[vgprValuB_X4_I0+3], v[vgprLocalReadAddrB] offset:8960 // L -> Reg lro=2048 swapByteOffset=0 ti=64 vIdx=3 rIdx=0 oIdx=0 buffer=4 iui=0
_ds_load_b32 v[vgprValuA_X5_I0+0], v[vgprLocalReadAddrA] offset:10240 // L -> Reg lro=2560 swapByteOffset=0 ti=128 vIdx=0 rIdx=0 oIdx=0 buffer=5 iui=0
_ds_load_b32 v[vgprValuB_X5_I0+0], v[vgprLocalReadAddrB] offset:10240 // L -> Reg lro=2560 swapByteOffset=0 ti=64 vIdx=0 rIdx=0 oIdx=0 buffer=5 iui=0
_ds_load_b32 v[vgprValuA_X5_I0+1], v[vgprLocalReadAddrA] offset:10244 // L -> Reg lro=2560 swapByteOffset=0 ti=128 vIdx=0 rIdx=0 oIdx=0 buffer=5 iui=0
_ds_load_b32 v[vgprValuA_X5_I0+2], v[vgprLocalReadAddrA] offset:10752 // L -> Reg lro=2560 swapByteOffset=0 ti=128 vIdx=1 rIdx=0 oIdx=0 buffer=5 iui=0
v_mfma_f32_32x32x2_f32 a[80+0:95+0], v[vgprValuA_X0_I0+1+0+0], v[vgprValuB_X0_I0+1+0+0], a[80:95]
/*  mfmaIndex:7  */
/* localReadsVacancy: latencyLeft 13 */
_ds_load_b32 v[vgprValuA_X5_I0+3], v[vgprLocalReadAddrA] offset:10756 // L -> Reg lro=2560 swapByteOffset=0 ti=128 vIdx=1 rIdx=0 oIdx=0 buffer=5 iui=0
_ds_load_b32 v[vgprValuB_X5_I0+1], v[vgprLocalReadAddrB] offset:10496 // L -> Reg lro=2560 swapByteOffset=0 ti=64 vIdx=1 rIdx=0 oIdx=0 buffer=5 iui=0
_ds_load_b32 v[vgprValuB_X5_I0+2], v[vgprLocalReadAddrB] offset:10752 // L -> Reg lro=2560 swapByteOffset=0 ti=64 vIdx=2 rIdx=0 oIdx=0 buffer=5 iui=0
	;; [unrolled: 1-line block ×3, first 2 shown]
_ds_load_b32 v[vgprValuA_X6_I0+0], v[vgprLocalReadAddrA] offset:12288 // L -> Reg lro=3072 swapByteOffset=0 ti=128 vIdx=0 rIdx=0 oIdx=0 buffer=6 iui=0
_ds_load_b32 v[vgprValuB_X6_I0+0], v[vgprLocalReadAddrB] offset:12288 // L -> Reg lro=3072 swapByteOffset=0 ti=64 vIdx=0 rIdx=0 oIdx=0 buffer=6 iui=0
v_mfma_f32_32x32x2_f32 a[64+0:79+0], v[vgprValuA_X0_I0+0+0+0], v[vgprValuB_X0_I0+1+0+0], a[64:79]
/*  mfmaIndex:8  */
/* localReadsVacancy: latencyLeft 13 */
_ds_load_b32 v[vgprValuA_X6_I0+1], v[vgprLocalReadAddrA] offset:12292 // L -> Reg lro=3072 swapByteOffset=0 ti=128 vIdx=0 rIdx=0 oIdx=0 buffer=6 iui=0
_ds_load_b32 v[vgprValuA_X6_I0+2], v[vgprLocalReadAddrA] offset:12800 // L -> Reg lro=3072 swapByteOffset=0 ti=128 vIdx=1 rIdx=0 oIdx=0 buffer=6 iui=0
_ds_load_b32 v[vgprValuA_X6_I0+3], v[vgprLocalReadAddrA] offset:12804 // L -> Reg lro=3072 swapByteOffset=0 ti=128 vIdx=1 rIdx=0 oIdx=0 buffer=6 iui=0
_ds_load_b32 v[vgprValuB_X6_I0+1], v[vgprLocalReadAddrB] offset:12544 // L -> Reg lro=3072 swapByteOffset=0 ti=64 vIdx=1 rIdx=0 oIdx=0 buffer=6 iui=0
_ds_load_b32 v[vgprValuB_X6_I0+2], v[vgprLocalReadAddrB] offset:12800 // L -> Reg lro=3072 swapByteOffset=0 ti=64 vIdx=2 rIdx=0 oIdx=0 buffer=6 iui=0
_ds_load_b32 v[vgprValuB_X6_I0+3], v[vgprLocalReadAddrB] offset:13056 // L -> Reg lro=3072 swapByteOffset=0 ti=64 vIdx=3 rIdx=0 oIdx=0 buffer=6 iui=0
v_mfma_f32_32x32x2_f32 a[128+0:143+0], v[vgprValuA_X0_I0+0+0+0], v[vgprValuB_X0_I0+2+0+0], a[128:143]
/*  mfmaIndex:9  */
/* localReadsVacancy: latencyLeft 13 */
_ds_load_b32 v[vgprValuA_X7_I0+0], v[vgprLocalReadAddrA] offset:14336 // L -> Reg lro=3584 swapByteOffset=0 ti=128 vIdx=0 rIdx=0 oIdx=0 buffer=7 iui=0
_ds_load_b32 v[vgprValuB_X7_I0+0], v[vgprLocalReadAddrB] offset:14336 // L -> Reg lro=3584 swapByteOffset=0 ti=64 vIdx=0 rIdx=0 oIdx=0 buffer=7 iui=0
_ds_load_b32 v[vgprValuA_X7_I0+1], v[vgprLocalReadAddrA] offset:14340 // L -> Reg lro=3584 swapByteOffset=0 ti=128 vIdx=0 rIdx=0 oIdx=0 buffer=7 iui=0
_ds_load_b32 v[vgprValuA_X7_I0+2], v[vgprLocalReadAddrA] offset:14848 // L -> Reg lro=3584 swapByteOffset=0 ti=128 vIdx=1 rIdx=0 oIdx=0 buffer=7 iui=0
	;; [unrolled: 1-line block ×3, first 2 shown]
_ds_load_b32 v[vgprValuB_X7_I0+1], v[vgprLocalReadAddrB] offset:14592 // L -> Reg lro=3584 swapByteOffset=0 ti=64 vIdx=1 rIdx=0 oIdx=0 buffer=7 iui=0
v_mfma_f32_32x32x2_f32 a[144+0:159+0], v[vgprValuA_X0_I0+1+0+0], v[vgprValuB_X0_I0+2+0+0], a[144:159]
/*  mfmaIndex:10  */
/* localReadsVacancy: latencyLeft 13 */
_ds_load_b32 v[vgprValuB_X7_I0+2], v[vgprLocalReadAddrB] offset:14848 // L -> Reg lro=3584 swapByteOffset=0 ti=64 vIdx=2 rIdx=0 oIdx=0 buffer=7 iui=0
_ds_load_b32 v[vgprValuB_X7_I0+3], v[vgprLocalReadAddrB] offset:15104 // L -> Reg lro=3584 swapByteOffset=0 ti=64 vIdx=3 rIdx=0 oIdx=0 buffer=7 iui=0
_ds_load_b32 v[vgprValuA_X8_I0+0], v[vgprLocalReadAddrA] offset:16384 // L -> Reg lro=4096 swapByteOffset=0 ti=128 vIdx=0 rIdx=0 oIdx=0 buffer=8 iui=0
_ds_load_b32 v[vgprValuB_X8_I0+0], v[vgprLocalReadAddrB] offset:16384 // L -> Reg lro=4096 swapByteOffset=0 ti=64 vIdx=0 rIdx=0 oIdx=0 buffer=8 iui=0
_ds_load_b32 v[vgprValuA_X8_I0+1], v[vgprLocalReadAddrA] offset:16388 // L -> Reg lro=4096 swapByteOffset=0 ti=128 vIdx=0 rIdx=0 oIdx=0 buffer=8 iui=0
_ds_load_b32 v[vgprValuA_X8_I0+2], v[vgprLocalReadAddrA] offset:16896 // L -> Reg lro=4096 swapByteOffset=0 ti=128 vIdx=1 rIdx=0 oIdx=0 buffer=8 iui=0
v_mfma_f32_32x32x2_f32 a[160+0:175+0], v[vgprValuA_X0_I0+2+0+0], v[vgprValuB_X0_I0+2+0+0], a[160:175]
/*  mfmaIndex:11  */
/* localReadsVacancy: latencyLeft 13 */
_ds_load_b32 v[vgprValuA_X8_I0+3], v[vgprLocalReadAddrA] offset:16900 // L -> Reg lro=4096 swapByteOffset=0 ti=128 vIdx=1 rIdx=0 oIdx=0 buffer=8 iui=0
_ds_load_b32 v[vgprValuB_X8_I0+1], v[vgprLocalReadAddrB] offset:16640 // L -> Reg lro=4096 swapByteOffset=0 ti=64 vIdx=1 rIdx=0 oIdx=0 buffer=8 iui=0
_ds_load_b32 v[vgprValuB_X8_I0+2], v[vgprLocalReadAddrB] offset:16896 // L -> Reg lro=4096 swapByteOffset=0 ti=64 vIdx=2 rIdx=0 oIdx=0 buffer=8 iui=0
	;; [unrolled: 1-line block ×3, first 2 shown]
_ds_load_b32 v[vgprValuA_X9_I0+0], v[vgprLocalReadAddrA] offset:18432 // L -> Reg lro=4608 swapByteOffset=0 ti=128 vIdx=0 rIdx=0 oIdx=0 buffer=9 iui=0
_ds_load_b32 v[vgprValuB_X9_I0+0], v[vgprLocalReadAddrB] offset:18432 // L -> Reg lro=4608 swapByteOffset=0 ti=64 vIdx=0 rIdx=0 oIdx=0 buffer=9 iui=0
v_mfma_f32_32x32x2_f32 a[176+0:191+0], v[vgprValuA_X0_I0+3+0+0], v[vgprValuB_X0_I0+2+0+0], a[176:191]
/*  mfmaIndex:12  */
/* localReadsVacancy: latencyLeft 13 */
_ds_load_b32 v[vgprValuA_X9_I0+1], v[vgprLocalReadAddrA] offset:18436 // L -> Reg lro=4608 swapByteOffset=0 ti=128 vIdx=0 rIdx=0 oIdx=0 buffer=9 iui=0
_ds_load_b32 v[vgprValuA_X9_I0+2], v[vgprLocalReadAddrA] offset:18944 // L -> Reg lro=4608 swapByteOffset=0 ti=128 vIdx=1 rIdx=0 oIdx=0 buffer=9 iui=0
	;; [unrolled: 1-line block ×3, first 2 shown]
_ds_load_b32 v[vgprValuB_X9_I0+1], v[vgprLocalReadAddrB] offset:18688 // L -> Reg lro=4608 swapByteOffset=0 ti=64 vIdx=1 rIdx=0 oIdx=0 buffer=9 iui=0
_ds_load_b32 v[vgprValuB_X9_I0+2], v[vgprLocalReadAddrB] offset:18944 // L -> Reg lro=4608 swapByteOffset=0 ti=64 vIdx=2 rIdx=0 oIdx=0 buffer=9 iui=0
	;; [unrolled: 1-line block ×3, first 2 shown]
v_mfma_f32_32x32x2_f32 a[240+0:255+0], v[vgprValuA_X0_I0+3+0+0], v[vgprValuB_X0_I0+3+0+0], a[240:255]
/*  mfmaIndex:13  */
/* localReadsVacancy: latencyLeft 13 */
_ds_load_b32 v[vgprValuA_X10_I0+0], v[vgprLocalReadAddrA] offset:20480 // L -> Reg lro=5120 swapByteOffset=0 ti=128 vIdx=0 rIdx=0 oIdx=0 buffer=10 iui=0
_ds_load_b32 v[vgprValuB_X10_I0+0], v[vgprLocalReadAddrB] offset:20480 // L -> Reg lro=5120 swapByteOffset=0 ti=64 vIdx=0 rIdx=0 oIdx=0 buffer=10 iui=0
_ds_load_b32 v[vgprValuA_X10_I0+1], v[vgprLocalReadAddrA] offset:20484 // L -> Reg lro=5120 swapByteOffset=0 ti=128 vIdx=0 rIdx=0 oIdx=0 buffer=10 iui=0
_ds_load_b32 v[vgprValuA_X10_I0+2], v[vgprLocalReadAddrA] offset:20992 // L -> Reg lro=5120 swapByteOffset=0 ti=128 vIdx=1 rIdx=0 oIdx=0 buffer=10 iui=0
_ds_load_b32 v[vgprValuA_X10_I0+3], v[vgprLocalReadAddrA] offset:20996 // L -> Reg lro=5120 swapByteOffset=0 ti=128 vIdx=1 rIdx=0 oIdx=0 buffer=10 iui=0
_ds_load_b32 v[vgprValuB_X10_I0+1], v[vgprLocalReadAddrB] offset:20736 // L -> Reg lro=5120 swapByteOffset=0 ti=64 vIdx=1 rIdx=0 oIdx=0 buffer=10 iui=0
v_mfma_f32_32x32x2_f32 a[224+0:239+0], v[vgprValuA_X0_I0+2+0+0], v[vgprValuB_X0_I0+3+0+0], a[224:239]
/*  mfmaIndex:14  */
/* localReadsVacancy: latencyLeft 13 */
_ds_load_b32 v[vgprValuB_X10_I0+2], v[vgprLocalReadAddrB] offset:20992 // L -> Reg lro=5120 swapByteOffset=0 ti=64 vIdx=2 rIdx=0 oIdx=0 buffer=10 iui=0
_ds_load_b32 v[vgprValuB_X10_I0+3], v[vgprLocalReadAddrB] offset:21248 // L -> Reg lro=5120 swapByteOffset=0 ti=64 vIdx=3 rIdx=0 oIdx=0 buffer=10 iui=0
_ds_load_b32 v[vgprValuA_X11_I0+0], v[vgprLocalReadAddrA] offset:22528 // L -> Reg lro=5632 swapByteOffset=0 ti=128 vIdx=0 rIdx=0 oIdx=0 buffer=11 iui=0
_ds_load_b32 v[vgprValuB_X11_I0+0], v[vgprLocalReadAddrB] offset:22528 // L -> Reg lro=5632 swapByteOffset=0 ti=64 vIdx=0 rIdx=0 oIdx=0 buffer=11 iui=0
_ds_load_b32 v[vgprValuA_X11_I0+1], v[vgprLocalReadAddrA] offset:22532 // L -> Reg lro=5632 swapByteOffset=0 ti=128 vIdx=0 rIdx=0 oIdx=0 buffer=11 iui=0
_ds_load_b32 v[vgprValuA_X11_I0+2], v[vgprLocalReadAddrA] offset:23040 // L -> Reg lro=5632 swapByteOffset=0 ti=128 vIdx=1 rIdx=0 oIdx=0 buffer=11 iui=0
v_mfma_f32_32x32x2_f32 a[208+0:223+0], v[vgprValuA_X0_I0+1+0+0], v[vgprValuB_X0_I0+3+0+0], a[208:223]
/*  mfmaIndex:15  */
/* localReadsVacancy: latencyLeft 13 */
_ds_load_b32 v[vgprValuA_X11_I0+3], v[vgprLocalReadAddrA] offset:23044 // L -> Reg lro=5632 swapByteOffset=0 ti=128 vIdx=1 rIdx=0 oIdx=0 buffer=11 iui=0
_ds_load_b32 v[vgprValuB_X11_I0+1], v[vgprLocalReadAddrB] offset:22784 // L -> Reg lro=5632 swapByteOffset=0 ti=64 vIdx=1 rIdx=0 oIdx=0 buffer=11 iui=0
_ds_load_b32 v[vgprValuB_X11_I0+2], v[vgprLocalReadAddrB] offset:23040 // L -> Reg lro=5632 swapByteOffset=0 ti=64 vIdx=2 rIdx=0 oIdx=0 buffer=11 iui=0
	;; [unrolled: 1-line block ×3, first 2 shown]
_ds_load_b32 v[vgprValuA_X12_I0+0], v[vgprLocalReadAddrA] offset:24576 // L -> Reg lro=6144 swapByteOffset=0 ti=128 vIdx=0 rIdx=0 oIdx=0 buffer=12 iui=0
_ds_load_b32 v[vgprValuB_X12_I0+0], v[vgprLocalReadAddrB] offset:24576 // L -> Reg lro=6144 swapByteOffset=0 ti=64 vIdx=0 rIdx=0 oIdx=0 buffer=12 iui=0
v_mfma_f32_32x32x2_f32 a[192+0:207+0], v[vgprValuA_X0_I0+0+0+0], v[vgprValuB_X0_I0+3+0+0], a[192:207]
/* numPrefetchIter=0 */
/* dataAtIterA=-1 numReadsIterA=1 skipReadsIterA=1 readsPerIterA=4 */
/* dataAtIterB=-1 numReadsIterB=1 skipReadsIterB=1 readsPerIterB=4 */


/* iter 1 */

/*  grEndMfmaIndex:2, lwStartMfmaIndex:37, lwEndMfmaIndex:252  */
/*  numMfmaForLR:2, barrierMfmaIndex:253, LocalWritePerMfma:0.070 */
/*  mfmaIndex:16  */
/* localReadsVacancy: latencyLeft 13 */
_ds_load_b32 v[vgprValuA_X12_I0+1], v[vgprLocalReadAddrA] offset:24580 // L -> Reg lro=6144 swapByteOffset=0 ti=128 vIdx=0 rIdx=0 oIdx=0 buffer=12 iui=0
_ds_load_b32 v[vgprValuA_X12_I0+2], v[vgprLocalReadAddrA] offset:25088 // L -> Reg lro=6144 swapByteOffset=0 ti=128 vIdx=1 rIdx=0 oIdx=0 buffer=12 iui=0
	;; [unrolled: 1-line block ×3, first 2 shown]
_ds_load_b32 v[vgprValuB_X12_I0+1], v[vgprLocalReadAddrB] offset:24832 // L -> Reg lro=6144 swapByteOffset=0 ti=64 vIdx=1 rIdx=0 oIdx=0 buffer=12 iui=0
_ds_load_b32 v[vgprValuB_X12_I0+2], v[vgprLocalReadAddrB] offset:25088 // L -> Reg lro=6144 swapByteOffset=0 ti=64 vIdx=2 rIdx=0 oIdx=0 buffer=12 iui=0
	;; [unrolled: 1-line block ×3, first 2 shown]
s_waitcnt lgkmcnt(15)                              // lgkmcnt=0 vmcnt=-1wait for prior local read local write old=8, new=8 newLW=0 newLR=0
v_mfma_f32_32x32x2_f32 a[0+0:15+0], v[vgprValuA_X1_I0+0+0+0], v[vgprValuB_X1_I0+0+0+0], a[0:15]
/*  mfmaIndex:17  */
/* localReadsVacancy: latencyLeft 13 */
_ds_load_b32 v[vgprValuA_X13_I0+0], v[vgprLocalReadAddrA] offset:26624 // L -> Reg lro=6656 swapByteOffset=0 ti=128 vIdx=0 rIdx=0 oIdx=0 buffer=13 iui=0
_ds_load_b32 v[vgprValuB_X13_I0+0], v[vgprLocalReadAddrB] offset:26624 // L -> Reg lro=6656 swapByteOffset=0 ti=64 vIdx=0 rIdx=0 oIdx=0 buffer=13 iui=0
_ds_load_b32 v[vgprValuA_X13_I0+1], v[vgprLocalReadAddrA] offset:26628 // L -> Reg lro=6656 swapByteOffset=0 ti=128 vIdx=0 rIdx=0 oIdx=0 buffer=13 iui=0
_ds_load_b32 v[vgprValuA_X13_I0+2], v[vgprLocalReadAddrA] offset:27136 // L -> Reg lro=6656 swapByteOffset=0 ti=128 vIdx=1 rIdx=0 oIdx=0 buffer=13 iui=0
	;; [unrolled: 1-line block ×3, first 2 shown]
_ds_load_b32 v[vgprValuB_X13_I0+1], v[vgprLocalReadAddrB] offset:26880 // L -> Reg lro=6656 swapByteOffset=0 ti=64 vIdx=1 rIdx=0 oIdx=0 buffer=13 iui=0
v_mfma_f32_32x32x2_f32 a[16+0:31+0], v[vgprValuA_X1_I0+1+0+0], v[vgprValuB_X1_I0+0+0+0], a[16:31]
/*  mfmaIndex:18  */
/* localReadsVacancy: latencyLeft 13 */
_ds_load_b32 v[vgprValuB_X13_I0+2], v[vgprLocalReadAddrB] offset:27136 // L -> Reg lro=6656 swapByteOffset=0 ti=64 vIdx=2 rIdx=0 oIdx=0 buffer=13 iui=0
_ds_load_b32 v[vgprValuB_X13_I0+3], v[vgprLocalReadAddrB] offset:27392 // L -> Reg lro=6656 swapByteOffset=0 ti=64 vIdx=3 rIdx=0 oIdx=0 buffer=13 iui=0
_ds_load_b32 v[vgprValuA_X14_I0+0], v[vgprLocalReadAddrA] offset:28672 // L -> Reg lro=7168 swapByteOffset=0 ti=128 vIdx=0 rIdx=0 oIdx=0 buffer=14 iui=0
_ds_load_b32 v[vgprValuB_X14_I0+0], v[vgprLocalReadAddrB] offset:28672 // L -> Reg lro=7168 swapByteOffset=0 ti=64 vIdx=0 rIdx=0 oIdx=0 buffer=14 iui=0
_ds_load_b32 v[vgprValuA_X14_I0+1], v[vgprLocalReadAddrA] offset:28676 // L -> Reg lro=7168 swapByteOffset=0 ti=128 vIdx=0 rIdx=0 oIdx=0 buffer=14 iui=0
_ds_load_b32 v[vgprValuA_X14_I0+2], v[vgprLocalReadAddrA] offset:29184 // L -> Reg lro=7168 swapByteOffset=0 ti=128 vIdx=1 rIdx=0 oIdx=0 buffer=14 iui=0
v_mfma_f32_32x32x2_f32 a[32+0:47+0], v[vgprValuA_X1_I0+2+0+0], v[vgprValuB_X1_I0+0+0+0], a[32:47]
/*  mfmaIndex:19  */
/* localReadsVacancy: latencyLeft 13 */
_ds_load_b32 v[vgprValuA_X14_I0+3], v[vgprLocalReadAddrA] offset:29188 // L -> Reg lro=7168 swapByteOffset=0 ti=128 vIdx=1 rIdx=0 oIdx=0 buffer=14 iui=0
_ds_load_b32 v[vgprValuB_X14_I0+1], v[vgprLocalReadAddrB] offset:28928 // L -> Reg lro=7168 swapByteOffset=0 ti=64 vIdx=1 rIdx=0 oIdx=0 buffer=14 iui=0
_ds_load_b32 v[vgprValuB_X14_I0+2], v[vgprLocalReadAddrB] offset:29184 // L -> Reg lro=7168 swapByteOffset=0 ti=64 vIdx=2 rIdx=0 oIdx=0 buffer=14 iui=0
	;; [unrolled: 1-line block ×3, first 2 shown]
_ds_load_b32 v[vgprValuA_X15_I0+0], v[vgprLocalReadAddrA] offset:30720 // L -> Reg lro=7680 swapByteOffset=0 ti=128 vIdx=0 rIdx=0 oIdx=0 buffer=15 iui=0
_ds_load_b32 v[vgprValuB_X15_I0+0], v[vgprLocalReadAddrB] offset:30720 // L -> Reg lro=7680 swapByteOffset=0 ti=64 vIdx=0 rIdx=0 oIdx=0 buffer=15 iui=0
v_mfma_f32_32x32x2_f32 a[48+0:63+0], v[vgprValuA_X1_I0+3+0+0], v[vgprValuB_X1_I0+0+0+0], a[48:63]
/*  mfmaIndex:20  */
/* localReadsVacancy: latencyLeft 13 */
_ds_load_b32 v[vgprValuA_X15_I0+1], v[vgprLocalReadAddrA] offset:30724 // L -> Reg lro=7680 swapByteOffset=0 ti=128 vIdx=0 rIdx=0 oIdx=0 buffer=15 iui=0
_ds_load_b32 v[vgprValuA_X15_I0+2], v[vgprLocalReadAddrA] offset:31232 // L -> Reg lro=7680 swapByteOffset=0 ti=128 vIdx=1 rIdx=0 oIdx=0 buffer=15 iui=0
	;; [unrolled: 1-line block ×3, first 2 shown]
_ds_load_b32 v[vgprValuB_X15_I0+1], v[vgprLocalReadAddrB] offset:30976 // L -> Reg lro=7680 swapByteOffset=0 ti=64 vIdx=1 rIdx=0 oIdx=0 buffer=15 iui=0
_ds_load_b32 v[vgprValuB_X15_I0+2], v[vgprLocalReadAddrB] offset:31232 // L -> Reg lro=7680 swapByteOffset=0 ti=64 vIdx=2 rIdx=0 oIdx=0 buffer=15 iui=0
	;; [unrolled: 1-line block ×3, first 2 shown]
v_mfma_f32_32x32x2_f32 a[112+0:127+0], v[vgprValuA_X1_I0+3+0+0], v[vgprValuB_X1_I0+1+0+0], a[112:127]
/*  mfmaIndex:21  */
/* localReadsVacancy: latencyLeft 13 */
v_mfma_f32_32x32x2_f32 a[96+0:111+0], v[vgprValuA_X1_I0+2+0+0], v[vgprValuB_X1_I0+1+0+0], a[96:111]
/*  mfmaIndex:22  */
/* localReadsVacancy: latencyLeft 13 */
v_mfma_f32_32x32x2_f32 a[80+0:95+0], v[vgprValuA_X1_I0+1+0+0], v[vgprValuB_X1_I0+1+0+0], a[80:95]
/*  mfmaIndex:23  */
/* localReadsVacancy: latencyLeft 13 */
v_mfma_f32_32x32x2_f32 a[64+0:79+0], v[vgprValuA_X1_I0+0+0+0], v[vgprValuB_X1_I0+1+0+0], a[64:79]
/*  mfmaIndex:24  */
/* localReadsVacancy: latencyLeft 13 */
v_mfma_f32_32x32x2_f32 a[128+0:143+0], v[vgprValuA_X1_I0+0+0+0], v[vgprValuB_X1_I0+2+0+0], a[128:143]
/*  mfmaIndex:25  */
/* localReadsVacancy: latencyLeft 13 */
v_mfma_f32_32x32x2_f32 a[144+0:159+0], v[vgprValuA_X1_I0+1+0+0], v[vgprValuB_X1_I0+2+0+0], a[144:159]
/*  mfmaIndex:26  */
/* localReadsVacancy: latencyLeft 13 */
v_mfma_f32_32x32x2_f32 a[160+0:175+0], v[vgprValuA_X1_I0+2+0+0], v[vgprValuB_X1_I0+2+0+0], a[160:175]
/*  mfmaIndex:27  */
/* localReadsVacancy: latencyLeft 13 */
v_mfma_f32_32x32x2_f32 a[176+0:191+0], v[vgprValuA_X1_I0+3+0+0], v[vgprValuB_X1_I0+2+0+0], a[176:191]
/*  mfmaIndex:28  */
/* localReadsVacancy: latencyLeft 13 */
v_mfma_f32_32x32x2_f32 a[240+0:255+0], v[vgprValuA_X1_I0+3+0+0], v[vgprValuB_X1_I0+3+0+0], a[240:255]
/*  mfmaIndex:29  */
/* localReadsVacancy: latencyLeft 13 */
v_mfma_f32_32x32x2_f32 a[224+0:239+0], v[vgprValuA_X1_I0+2+0+0], v[vgprValuB_X1_I0+3+0+0], a[224:239]
/*  mfmaIndex:30  */
/* localReadsVacancy: latencyLeft 13 */
v_mfma_f32_32x32x2_f32 a[208+0:223+0], v[vgprValuA_X1_I0+1+0+0], v[vgprValuB_X1_I0+3+0+0], a[208:223]
/*  mfmaIndex:31  */
/* localReadsVacancy: latencyLeft 13 */
v_mfma_f32_32x32x2_f32 a[192+0:207+0], v[vgprValuA_X1_I0+0+0+0], v[vgprValuB_X1_I0+3+0+0], a[192:207]
/* numPrefetchIter=0 */
/* dataAtIterA=0 numReadsIterA=2 skipReadsIterA=1 readsPerIterA=4 */
/* dataAtIterB=0 numReadsIterB=2 skipReadsIterB=1 readsPerIterB=4 */


/* iter 2 */

/*  grEndMfmaIndex:2, lwStartMfmaIndex:37, lwEndMfmaIndex:252  */
/*  numMfmaForLR:2, barrierMfmaIndex:253, LocalWritePerMfma:0.070 */
/*  mfmaIndex:32  */
/* localReadsVacancy: latencyLeft 13 */
s_waitcnt lgkmcnt(15)                              // lgkmcnt=0 vmcnt=-1wait for prior local read local write old=0, new=0 newLW=0 newLR=0
v_mfma_f32_32x32x2_f32 a[0+0:15+0], v[vgprValuA_X2_I0+0+0+0], v[vgprValuB_X2_I0+0+0+0], a[0:15]
/*  mfmaIndex:33  */
/* localReadsVacancy: latencyLeft 13 */
v_mfma_f32_32x32x2_f32 a[16+0:31+0], v[vgprValuA_X2_I0+1+0+0], v[vgprValuB_X2_I0+0+0+0], a[16:31]
/*  mfmaIndex:34  */
/* localReadsVacancy: latencyLeft 13 */
v_mfma_f32_32x32x2_f32 a[32+0:47+0], v[vgprValuA_X2_I0+2+0+0], v[vgprValuB_X2_I0+0+0+0], a[32:47]
/*  mfmaIndex:35  */
/* localReadsVacancy: latencyLeft 13 */
v_mfma_f32_32x32x2_f32 a[48+0:63+0], v[vgprValuA_X2_I0+3+0+0], v[vgprValuB_X2_I0+0+0+0], a[48:63]
/*  mfmaIndex:36  */
/* localReadsVacancy: latencyLeft 13 */
/* 1 LDS buffer: read-sync-write */
s_waitcnt lgkmcnt(0)                               // 
s_barrier                                          // 
v_mfma_f32_32x32x2_f32 a[112+0:127+0], v[vgprValuA_X2_I0+3+0+0], v[vgprValuB_X2_I0+1+0+0], a[112:127]
/*  mfmaIndex:37  */
/* localReadsVacancy: latencyLeft 9 */
s_setprio 3                                        // store optimization
/* sched write - iter 2 writesPerItem=4 */
s_waitcnt vmcnt(0)                                 // lgkmcnt=-1 vmcnt=0wait for global read before writing to local
_ds_store_b32 v[vgprLocalWriteAddrA], v[vgprG2LA+0] offset:0 // lwoA_0_0_0_0 = (0 + 0*LSCA)*(MT0I+PAD) + (0*LSPA) = 0
_ds_store_b32 v[vgprLocalWriteAddrA], v[vgprG2LA+1] offset:1024 // lwoA_0_1_0_0 = (1 + 0*LSCA)*(MT0I+PAD) + (0*LSPA) = 1024
_ds_store_b32 v[vgprLocalWriteAddrA], v[vgprG2LA+2] offset:2048 // lwoA_0_2_0_0 = (2 + 0*LSCA)*(MT0I+PAD) + (0*LSPA) = 2048
_ds_store_b32 v[vgprLocalWriteAddrA], v[vgprG2LA+3] offset:3072 // lwoA_0_3_0_0 = (3 + 0*LSCA)*(MT0I+PAD) + (0*LSPA) = 3072
v_mfma_f32_32x32x2_f32 a[96+0:111+0], v[vgprValuA_X2_I0+2+0+0], v[vgprValuB_X2_I0+1+0+0], a[96:111]
/*  mfmaIndex:38  */
v_mfma_f32_32x32x2_f32 a[80+0:95+0], v[vgprValuA_X2_I0+1+0+0], v[vgprValuB_X2_I0+1+0+0], a[80:95]
/*  mfmaIndex:39  */
	;; [unrolled: 2-line block ×10, first 2 shown]
v_mfma_f32_32x32x2_f32 a[192+0:207+0], v[vgprValuA_X2_I0+0+0+0], v[vgprValuB_X2_I0+3+0+0], a[192:207]
/* numPrefetchIter=0 */
/* dataAtIterA=1 numReadsIterA=3 skipReadsIterA=1 readsPerIterA=4 */
/* dataAtIterB=1 numReadsIterB=3 skipReadsIterB=1 readsPerIterB=4 */


/* iter 3 */

/*  grEndMfmaIndex:2, lwStartMfmaIndex:37, lwEndMfmaIndex:252  */
/*  numMfmaForLR:2, barrierMfmaIndex:253, LocalWritePerMfma:0.070 */
/*  mfmaIndex:48  */
v_mfma_f32_32x32x2_f32 a[0+0:15+0], v[vgprValuA_X3_I0+0+0+0], v[vgprValuB_X3_I0+0+0+0], a[0:15]
/*  mfmaIndex:49  */
v_mfma_f32_32x32x2_f32 a[16+0:31+0], v[vgprValuA_X3_I0+1+0+0], v[vgprValuB_X3_I0+0+0+0], a[16:31]
	;; [unrolled: 2-line block ×3, first 2 shown]
/*  mfmaIndex:51  */
/* sched write - iter 3 writesPerItem=4 */
s_waitcnt vmcnt(0)                                 // lgkmcnt=-1 vmcnt=0wait for global read before writing to local
_ds_store_b32 v[vgprLocalWriteAddrA], v[vgprG2LA+4] offset:128 // lwoA_0_0_1_0 = (0 + 0*LSCA)*(MT0I+PAD) + (1*LSPA) = 128
_ds_store_b32 v[vgprLocalWriteAddrA], v[vgprG2LA+5] offset:1152 // lwoA_0_1_1_0 = (1 + 0*LSCA)*(MT0I+PAD) + (1*LSPA) = 1152
_ds_store_b32 v[vgprLocalWriteAddrA], v[vgprG2LA+6] offset:2176 // lwoA_0_2_1_0 = (2 + 0*LSCA)*(MT0I+PAD) + (1*LSPA) = 2176
_ds_store_b32 v[vgprLocalWriteAddrA], v[vgprG2LA+7] offset:3200 // lwoA_0_3_1_0 = (3 + 0*LSCA)*(MT0I+PAD) + (1*LSPA) = 3200
v_mfma_f32_32x32x2_f32 a[48+0:63+0], v[vgprValuA_X3_I0+3+0+0], v[vgprValuB_X3_I0+0+0+0], a[48:63]
/*  mfmaIndex:52  */
v_mfma_f32_32x32x2_f32 a[112+0:127+0], v[vgprValuA_X3_I0+3+0+0], v[vgprValuB_X3_I0+1+0+0], a[112:127]
/*  mfmaIndex:53  */
	;; [unrolled: 2-line block ×12, first 2 shown]
v_mfma_f32_32x32x2_f32 a[192+0:207+0], v[vgprValuA_X3_I0+0+0+0], v[vgprValuB_X3_I0+3+0+0], a[192:207]


/* iter 4 */

/*  grEndMfmaIndex:2, lwStartMfmaIndex:37, lwEndMfmaIndex:252  */
/*  numMfmaForLR:2, barrierMfmaIndex:253, LocalWritePerMfma:0.070 */
/*  mfmaIndex:64  */
v_mfma_f32_32x32x2_f32 a[0+0:15+0], v[vgprValuA_X4_I0+0+0+0], v[vgprValuB_X4_I0+0+0+0], a[0:15]
/*  mfmaIndex:65  */
/* sched write - iter 4 writesPerItem=4 */
s_waitcnt vmcnt(0)                                 // lgkmcnt=-1 vmcnt=0wait for global read before writing to local
_ds_store_b32 v[vgprLocalWriteAddrA], v[vgprG2LA+8] offset:256 // lwoA_0_0_2_0 = (0 + 0*LSCA)*(MT0I+PAD) + (2*LSPA) = 256
_ds_store_b32 v[vgprLocalWriteAddrA], v[vgprG2LA+9] offset:1280 // lwoA_0_1_2_0 = (1 + 0*LSCA)*(MT0I+PAD) + (2*LSPA) = 1280
_ds_store_b32 v[vgprLocalWriteAddrA], v[vgprG2LA+10] offset:2304 // lwoA_0_2_2_0 = (2 + 0*LSCA)*(MT0I+PAD) + (2*LSPA) = 2304
_ds_store_b32 v[vgprLocalWriteAddrA], v[vgprG2LA+11] offset:3328 // lwoA_0_3_2_0 = (3 + 0*LSCA)*(MT0I+PAD) + (2*LSPA) = 3328
v_mfma_f32_32x32x2_f32 a[16+0:31+0], v[vgprValuA_X4_I0+1+0+0], v[vgprValuB_X4_I0+0+0+0], a[16:31]
/*  mfmaIndex:66  */
v_mfma_f32_32x32x2_f32 a[32+0:47+0], v[vgprValuA_X4_I0+2+0+0], v[vgprValuB_X4_I0+0+0+0], a[32:47]
/*  mfmaIndex:67  */
	;; [unrolled: 2-line block ×14, first 2 shown]
/* sched write - iter 4 writesPerItem=4 */
s_waitcnt vmcnt(0)                                 // lgkmcnt=-1 vmcnt=0wait for global read before writing to local
_ds_store_b32 v[vgprLocalWriteAddrA], v[vgprG2LA+12] offset:384 // lwoA_0_0_3_0 = (0 + 0*LSCA)*(MT0I+PAD) + (3*LSPA) = 384
_ds_store_b32 v[vgprLocalWriteAddrA], v[vgprG2LA+13] offset:1408 // lwoA_0_1_3_0 = (1 + 0*LSCA)*(MT0I+PAD) + (3*LSPA) = 1408
_ds_store_b32 v[vgprLocalWriteAddrA], v[vgprG2LA+14] offset:2432 // lwoA_0_2_3_0 = (2 + 0*LSCA)*(MT0I+PAD) + (3*LSPA) = 2432
_ds_store_b32 v[vgprLocalWriteAddrA], v[vgprG2LA+15] offset:3456 // lwoA_0_3_3_0 = (3 + 0*LSCA)*(MT0I+PAD) + (3*LSPA) = 3456
v_mfma_f32_32x32x2_f32 a[192+0:207+0], v[vgprValuA_X4_I0+0+0+0], v[vgprValuB_X4_I0+3+0+0], a[192:207]


/* iter 5 */

/*  grEndMfmaIndex:2, lwStartMfmaIndex:37, lwEndMfmaIndex:252  */
/*  numMfmaForLR:2, barrierMfmaIndex:253, LocalWritePerMfma:0.070 */
/*  mfmaIndex:80  */
v_mfma_f32_32x32x2_f32 a[0+0:15+0], v[vgprValuA_X5_I0+0+0+0], v[vgprValuB_X5_I0+0+0+0], a[0:15]
/*  mfmaIndex:81  */
v_mfma_f32_32x32x2_f32 a[16+0:31+0], v[vgprValuA_X5_I0+1+0+0], v[vgprValuB_X5_I0+0+0+0], a[16:31]
	;; [unrolled: 2-line block ×14, first 2 shown]
/*  mfmaIndex:94  */
/* sched write - iter 5 writesPerItem=4 */
s_waitcnt vmcnt(0)                                 // lgkmcnt=-1 vmcnt=0wait for global read before writing to local
_ds_store_b32 v[vgprLocalWriteAddrA], v[vgprG2LA+16] offset:512 // lwoA_0_0_4_0 = (0 + 0*LSCA)*(MT0I+PAD) + (4*LSPA) = 512
_ds_store_b32 v[vgprLocalWriteAddrA], v[vgprG2LA+17] offset:1536 // lwoA_0_1_4_0 = (1 + 0*LSCA)*(MT0I+PAD) + (4*LSPA) = 1536
_ds_store_b32 v[vgprLocalWriteAddrA], v[vgprG2LA+18] offset:2560 // lwoA_0_2_4_0 = (2 + 0*LSCA)*(MT0I+PAD) + (4*LSPA) = 2560
_ds_store_b32 v[vgprLocalWriteAddrA], v[vgprG2LA+19] offset:3584 // lwoA_0_3_4_0 = (3 + 0*LSCA)*(MT0I+PAD) + (4*LSPA) = 3584
v_mfma_f32_32x32x2_f32 a[208+0:223+0], v[vgprValuA_X5_I0+1+0+0], v[vgprValuB_X5_I0+3+0+0], a[208:223]
/*  mfmaIndex:95  */
v_mfma_f32_32x32x2_f32 a[192+0:207+0], v[vgprValuA_X5_I0+0+0+0], v[vgprValuB_X5_I0+3+0+0], a[192:207]


/* iter 6 */

/*  grEndMfmaIndex:2, lwStartMfmaIndex:37, lwEndMfmaIndex:252  */
/*  numMfmaForLR:2, barrierMfmaIndex:253, LocalWritePerMfma:0.070 */
/*  mfmaIndex:96  */
v_mfma_f32_32x32x2_f32 a[0+0:15+0], v[vgprValuA_X6_I0+0+0+0], v[vgprValuB_X6_I0+0+0+0], a[0:15]
/*  mfmaIndex:97  */
v_mfma_f32_32x32x2_f32 a[16+0:31+0], v[vgprValuA_X6_I0+1+0+0], v[vgprValuB_X6_I0+0+0+0], a[16:31]
	;; [unrolled: 2-line block ×12, first 2 shown]
/*  mfmaIndex:108  */
/* sched write - iter 6 writesPerItem=4 */
s_waitcnt vmcnt(0)                                 // lgkmcnt=-1 vmcnt=0wait for global read before writing to local
_ds_store_b32 v[vgprLocalWriteAddrA], v[vgprG2LA+20] offset:640 // lwoA_0_0_5_0 = (0 + 0*LSCA)*(MT0I+PAD) + (5*LSPA) = 640
_ds_store_b32 v[vgprLocalWriteAddrA], v[vgprG2LA+21] offset:1664 // lwoA_0_1_5_0 = (1 + 0*LSCA)*(MT0I+PAD) + (5*LSPA) = 1664
_ds_store_b32 v[vgprLocalWriteAddrA], v[vgprG2LA+22] offset:2688 // lwoA_0_2_5_0 = (2 + 0*LSCA)*(MT0I+PAD) + (5*LSPA) = 2688
_ds_store_b32 v[vgprLocalWriteAddrA], v[vgprG2LA+23] offset:3712 // lwoA_0_3_5_0 = (3 + 0*LSCA)*(MT0I+PAD) + (5*LSPA) = 3712
v_mfma_f32_32x32x2_f32 a[240+0:255+0], v[vgprValuA_X6_I0+3+0+0], v[vgprValuB_X6_I0+3+0+0], a[240:255]
/*  mfmaIndex:109  */
v_mfma_f32_32x32x2_f32 a[224+0:239+0], v[vgprValuA_X6_I0+2+0+0], v[vgprValuB_X6_I0+3+0+0], a[224:239]
/*  mfmaIndex:110  */
	;; [unrolled: 2-line block ×3, first 2 shown]
v_mfma_f32_32x32x2_f32 a[192+0:207+0], v[vgprValuA_X6_I0+0+0+0], v[vgprValuB_X6_I0+3+0+0], a[192:207]


/* iter 7 */

/*  grEndMfmaIndex:2, lwStartMfmaIndex:37, lwEndMfmaIndex:252  */
/*  numMfmaForLR:2, barrierMfmaIndex:253, LocalWritePerMfma:0.070 */
/*  mfmaIndex:112  */
v_mfma_f32_32x32x2_f32 a[0+0:15+0], v[vgprValuA_X7_I0+0+0+0], v[vgprValuB_X7_I0+0+0+0], a[0:15]
/*  mfmaIndex:113  */
v_mfma_f32_32x32x2_f32 a[16+0:31+0], v[vgprValuA_X7_I0+1+0+0], v[vgprValuB_X7_I0+0+0+0], a[16:31]
	;; [unrolled: 2-line block ×10, first 2 shown]
/*  mfmaIndex:122  */
/* sched write - iter 7 writesPerItem=4 */
s_waitcnt vmcnt(0)                                 // lgkmcnt=-1 vmcnt=0wait for global read before writing to local
_ds_store_b32 v[vgprLocalWriteAddrA], v[vgprG2LA+24] offset:768 // lwoA_0_0_6_0 = (0 + 0*LSCA)*(MT0I+PAD) + (6*LSPA) = 768
_ds_store_b32 v[vgprLocalWriteAddrA], v[vgprG2LA+25] offset:1792 // lwoA_0_1_6_0 = (1 + 0*LSCA)*(MT0I+PAD) + (6*LSPA) = 1792
_ds_store_b32 v[vgprLocalWriteAddrA], v[vgprG2LA+26] offset:2816 // lwoA_0_2_6_0 = (2 + 0*LSCA)*(MT0I+PAD) + (6*LSPA) = 2816
_ds_store_b32 v[vgprLocalWriteAddrA], v[vgprG2LA+27] offset:3840 // lwoA_0_3_6_0 = (3 + 0*LSCA)*(MT0I+PAD) + (6*LSPA) = 3840
v_mfma_f32_32x32x2_f32 a[160+0:175+0], v[vgprValuA_X7_I0+2+0+0], v[vgprValuB_X7_I0+2+0+0], a[160:175]
/*  mfmaIndex:123  */
v_mfma_f32_32x32x2_f32 a[176+0:191+0], v[vgprValuA_X7_I0+3+0+0], v[vgprValuB_X7_I0+2+0+0], a[176:191]
/*  mfmaIndex:124  */
	;; [unrolled: 2-line block ×5, first 2 shown]
v_mfma_f32_32x32x2_f32 a[192+0:207+0], v[vgprValuA_X7_I0+0+0+0], v[vgprValuB_X7_I0+3+0+0], a[192:207]


/* iter 8 */

/*  grEndMfmaIndex:2, lwStartMfmaIndex:37, lwEndMfmaIndex:252  */
/*  numMfmaForLR:2, barrierMfmaIndex:253, LocalWritePerMfma:0.070 */
/*  mfmaIndex:128  */
v_mfma_f32_32x32x2_f32 a[0+0:15+0], v[vgprValuA_X8_I0+0+0+0], v[vgprValuB_X8_I0+0+0+0], a[0:15]
/*  mfmaIndex:129  */
v_mfma_f32_32x32x2_f32 a[16+0:31+0], v[vgprValuA_X8_I0+1+0+0], v[vgprValuB_X8_I0+0+0+0], a[16:31]
	;; [unrolled: 2-line block ×9, first 2 shown]
/*  mfmaIndex:137  */
/* sched write - iter 8 writesPerItem=4 */
s_waitcnt vmcnt(0)                                 // lgkmcnt=-1 vmcnt=0wait for global read before writing to local
_ds_store_b32 v[vgprLocalWriteAddrA], v[vgprG2LA+28] offset:896 // lwoA_0_0_7_0 = (0 + 0*LSCA)*(MT0I+PAD) + (7*LSPA) = 896
_ds_store_b32 v[vgprLocalWriteAddrA], v[vgprG2LA+29] offset:1920 // lwoA_0_1_7_0 = (1 + 0*LSCA)*(MT0I+PAD) + (7*LSPA) = 1920
_ds_store_b32 v[vgprLocalWriteAddrA], v[vgprG2LA+30] offset:2944 // lwoA_0_2_7_0 = (2 + 0*LSCA)*(MT0I+PAD) + (7*LSPA) = 2944
_ds_store_b32 v[vgprLocalWriteAddrA], v[vgprG2LA+31] offset:3968 // lwoA_0_3_7_0 = (3 + 0*LSCA)*(MT0I+PAD) + (7*LSPA) = 3968
v_mfma_f32_32x32x2_f32 a[144+0:159+0], v[vgprValuA_X8_I0+1+0+0], v[vgprValuB_X8_I0+2+0+0], a[144:159]
/*  mfmaIndex:138  */
v_mfma_f32_32x32x2_f32 a[160+0:175+0], v[vgprValuA_X8_I0+2+0+0], v[vgprValuB_X8_I0+2+0+0], a[160:175]
/*  mfmaIndex:139  */
	;; [unrolled: 2-line block ×6, first 2 shown]
v_mfma_f32_32x32x2_f32 a[192+0:207+0], v[vgprValuA_X8_I0+0+0+0], v[vgprValuB_X8_I0+3+0+0], a[192:207]


/* iter 9 */

/*  grEndMfmaIndex:2, lwStartMfmaIndex:37, lwEndMfmaIndex:252  */
/*  numMfmaForLR:2, barrierMfmaIndex:253, LocalWritePerMfma:0.070 */
/*  mfmaIndex:144  */
v_mfma_f32_32x32x2_f32 a[0+0:15+0], v[vgprValuA_X9_I0+0+0+0], v[vgprValuB_X9_I0+0+0+0], a[0:15]
/*  mfmaIndex:145  */
v_mfma_f32_32x32x2_f32 a[16+0:31+0], v[vgprValuA_X9_I0+1+0+0], v[vgprValuB_X9_I0+0+0+0], a[16:31]
	;; [unrolled: 2-line block ×7, first 2 shown]
/*  mfmaIndex:151  */
/* sched write - iter 9 writesPerItem=4 */
s_waitcnt vmcnt(0)                                 // lgkmcnt=-1 vmcnt=0wait for global read before writing to local
_ds_store_b32 v[vgprLocalWriteAddrB], v[vgprG2LB+0] offset:0 // lwoB_0_0_0_0 = (0 + 0*LSCB)*(MT1J+PAD) + (0*LSPB) = 0
_ds_store_b32 v[vgprLocalWriteAddrB], v[vgprG2LB+1] offset:1024 // lwoB_0_1_0_0 = (1 + 0*LSCB)*(MT1J+PAD) + (0*LSPB) = 1024
_ds_store_b32 v[vgprLocalWriteAddrB], v[vgprG2LB+2] offset:2048 // lwoB_0_2_0_0 = (2 + 0*LSCB)*(MT1J+PAD) + (0*LSPB) = 2048
_ds_store_b32 v[vgprLocalWriteAddrB], v[vgprG2LB+3] offset:3072 // lwoB_0_3_0_0 = (3 + 0*LSCB)*(MT1J+PAD) + (0*LSPB) = 3072
v_mfma_f32_32x32x2_f32 a[64+0:79+0], v[vgprValuA_X9_I0+0+0+0], v[vgprValuB_X9_I0+1+0+0], a[64:79]
/*  mfmaIndex:152  */
v_mfma_f32_32x32x2_f32 a[128+0:143+0], v[vgprValuA_X9_I0+0+0+0], v[vgprValuB_X9_I0+2+0+0], a[128:143]
/*  mfmaIndex:153  */
	;; [unrolled: 2-line block ×8, first 2 shown]
v_mfma_f32_32x32x2_f32 a[192+0:207+0], v[vgprValuA_X9_I0+0+0+0], v[vgprValuB_X9_I0+3+0+0], a[192:207]


/* iter 10 */

/*  grEndMfmaIndex:2, lwStartMfmaIndex:37, lwEndMfmaIndex:252  */
/*  numMfmaForLR:2, barrierMfmaIndex:253, LocalWritePerMfma:0.070 */
/*  mfmaIndex:160  */
v_mfma_f32_32x32x2_f32 a[0+0:15+0], v[vgprValuA_X10_I0+0+0+0], v[vgprValuB_X10_I0+0+0+0], a[0:15]
/*  mfmaIndex:161  */
v_mfma_f32_32x32x2_f32 a[16+0:31+0], v[vgprValuA_X10_I0+1+0+0], v[vgprValuB_X10_I0+0+0+0], a[16:31]
	;; [unrolled: 2-line block ×5, first 2 shown]
/*  mfmaIndex:165  */
/* sched write - iter 10 writesPerItem=4 */
s_waitcnt vmcnt(0)                                 // lgkmcnt=-1 vmcnt=0wait for global read before writing to local
_ds_store_b32 v[vgprLocalWriteAddrB], v[vgprG2LB+4] offset:128 // lwoB_0_0_1_0 = (0 + 0*LSCB)*(MT1J+PAD) + (1*LSPB) = 128
_ds_store_b32 v[vgprLocalWriteAddrB], v[vgprG2LB+5] offset:1152 // lwoB_0_1_1_0 = (1 + 0*LSCB)*(MT1J+PAD) + (1*LSPB) = 1152
_ds_store_b32 v[vgprLocalWriteAddrB], v[vgprG2LB+6] offset:2176 // lwoB_0_2_1_0 = (2 + 0*LSCB)*(MT1J+PAD) + (1*LSPB) = 2176
_ds_store_b32 v[vgprLocalWriteAddrB], v[vgprG2LB+7] offset:3200 // lwoB_0_3_1_0 = (3 + 0*LSCB)*(MT1J+PAD) + (1*LSPB) = 3200
v_mfma_f32_32x32x2_f32 a[96+0:111+0], v[vgprValuA_X10_I0+2+0+0], v[vgprValuB_X10_I0+1+0+0], a[96:111]
/*  mfmaIndex:166  */
v_mfma_f32_32x32x2_f32 a[80+0:95+0], v[vgprValuA_X10_I0+1+0+0], v[vgprValuB_X10_I0+1+0+0], a[80:95]
/*  mfmaIndex:167  */
	;; [unrolled: 2-line block ×10, first 2 shown]
v_mfma_f32_32x32x2_f32 a[192+0:207+0], v[vgprValuA_X10_I0+0+0+0], v[vgprValuB_X10_I0+3+0+0], a[192:207]


/* iter 11 */

/*  grEndMfmaIndex:2, lwStartMfmaIndex:37, lwEndMfmaIndex:252  */
/*  numMfmaForLR:2, barrierMfmaIndex:253, LocalWritePerMfma:0.070 */
/*  mfmaIndex:176  */
v_mfma_f32_32x32x2_f32 a[0+0:15+0], v[vgprValuA_X11_I0+0+0+0], v[vgprValuB_X11_I0+0+0+0], a[0:15]
/*  mfmaIndex:177  */
v_mfma_f32_32x32x2_f32 a[16+0:31+0], v[vgprValuA_X11_I0+1+0+0], v[vgprValuB_X11_I0+0+0+0], a[16:31]
	;; [unrolled: 2-line block ×3, first 2 shown]
/*  mfmaIndex:179  */
/* sched write - iter 11 writesPerItem=4 */
s_waitcnt vmcnt(0)                                 // lgkmcnt=-1 vmcnt=0wait for global read before writing to local
_ds_store_b32 v[vgprLocalWriteAddrB], v[vgprG2LB+8] offset:256 // lwoB_0_0_2_0 = (0 + 0*LSCB)*(MT1J+PAD) + (2*LSPB) = 256
_ds_store_b32 v[vgprLocalWriteAddrB], v[vgprG2LB+9] offset:1280 // lwoB_0_1_2_0 = (1 + 0*LSCB)*(MT1J+PAD) + (2*LSPB) = 1280
_ds_store_b32 v[vgprLocalWriteAddrB], v[vgprG2LB+10] offset:2304 // lwoB_0_2_2_0 = (2 + 0*LSCB)*(MT1J+PAD) + (2*LSPB) = 2304
_ds_store_b32 v[vgprLocalWriteAddrB], v[vgprG2LB+11] offset:3328 // lwoB_0_3_2_0 = (3 + 0*LSCB)*(MT1J+PAD) + (2*LSPB) = 3328
v_mfma_f32_32x32x2_f32 a[48+0:63+0], v[vgprValuA_X11_I0+3+0+0], v[vgprValuB_X11_I0+0+0+0], a[48:63]
/*  mfmaIndex:180  */
v_mfma_f32_32x32x2_f32 a[112+0:127+0], v[vgprValuA_X11_I0+3+0+0], v[vgprValuB_X11_I0+1+0+0], a[112:127]
/*  mfmaIndex:181  */
	;; [unrolled: 2-line block ×12, first 2 shown]
v_mfma_f32_32x32x2_f32 a[192+0:207+0], v[vgprValuA_X11_I0+0+0+0], v[vgprValuB_X11_I0+3+0+0], a[192:207]


/* iter 12 */

/*  grEndMfmaIndex:2, lwStartMfmaIndex:37, lwEndMfmaIndex:252  */
/*  numMfmaForLR:2, barrierMfmaIndex:253, LocalWritePerMfma:0.070 */
/*  mfmaIndex:192  */
v_mfma_f32_32x32x2_f32 a[0+0:15+0], v[vgprValuA_X12_I0+0+0+0], v[vgprValuB_X12_I0+0+0+0], a[0:15]
/*  mfmaIndex:193  */
v_mfma_f32_32x32x2_f32 a[16+0:31+0], v[vgprValuA_X12_I0+1+0+0], v[vgprValuB_X12_I0+0+0+0], a[16:31]
/*  mfmaIndex:194  */
/* sched write - iter 12 writesPerItem=4 */
s_waitcnt vmcnt(0)                                 // lgkmcnt=-1 vmcnt=0wait for global read before writing to local
_ds_store_b32 v[vgprLocalWriteAddrB], v[vgprG2LB+12] offset:384 // lwoB_0_0_3_0 = (0 + 0*LSCB)*(MT1J+PAD) + (3*LSPB) = 384
_ds_store_b32 v[vgprLocalWriteAddrB], v[vgprG2LB+13] offset:1408 // lwoB_0_1_3_0 = (1 + 0*LSCB)*(MT1J+PAD) + (3*LSPB) = 1408
_ds_store_b32 v[vgprLocalWriteAddrB], v[vgprG2LB+14] offset:2432 // lwoB_0_2_3_0 = (2 + 0*LSCB)*(MT1J+PAD) + (3*LSPB) = 2432
_ds_store_b32 v[vgprLocalWriteAddrB], v[vgprG2LB+15] offset:3456 // lwoB_0_3_3_0 = (3 + 0*LSCB)*(MT1J+PAD) + (3*LSPB) = 3456
v_mfma_f32_32x32x2_f32 a[32+0:47+0], v[vgprValuA_X12_I0+2+0+0], v[vgprValuB_X12_I0+0+0+0], a[32:47]
/*  mfmaIndex:195  */
v_mfma_f32_32x32x2_f32 a[48+0:63+0], v[vgprValuA_X12_I0+3+0+0], v[vgprValuB_X12_I0+0+0+0], a[48:63]
/*  mfmaIndex:196  */
	;; [unrolled: 2-line block ×13, first 2 shown]
v_mfma_f32_32x32x2_f32 a[192+0:207+0], v[vgprValuA_X12_I0+0+0+0], v[vgprValuB_X12_I0+3+0+0], a[192:207]


/* iter 13 */

/*  grEndMfmaIndex:2, lwStartMfmaIndex:37, lwEndMfmaIndex:252  */
/*  numMfmaForLR:2, barrierMfmaIndex:253, LocalWritePerMfma:0.070 */
/*  mfmaIndex:208  */
/* sched write - iter 13 writesPerItem=4 */
s_waitcnt vmcnt(0)                                 // lgkmcnt=-1 vmcnt=0wait for global read before writing to local
_ds_store_b32 v[vgprLocalWriteAddrB], v[vgprG2LB+16] offset:512 // lwoB_0_0_4_0 = (0 + 0*LSCB)*(MT1J+PAD) + (4*LSPB) = 512
_ds_store_b32 v[vgprLocalWriteAddrB], v[vgprG2LB+17] offset:1536 // lwoB_0_1_4_0 = (1 + 0*LSCB)*(MT1J+PAD) + (4*LSPB) = 1536
_ds_store_b32 v[vgprLocalWriteAddrB], v[vgprG2LB+18] offset:2560 // lwoB_0_2_4_0 = (2 + 0*LSCB)*(MT1J+PAD) + (4*LSPB) = 2560
_ds_store_b32 v[vgprLocalWriteAddrB], v[vgprG2LB+19] offset:3584 // lwoB_0_3_4_0 = (3 + 0*LSCB)*(MT1J+PAD) + (4*LSPB) = 3584
v_mfma_f32_32x32x2_f32 a[0+0:15+0], v[vgprValuA_X13_I0+0+0+0], v[vgprValuB_X13_I0+0+0+0], a[0:15]
/*  mfmaIndex:209  */
v_mfma_f32_32x32x2_f32 a[16+0:31+0], v[vgprValuA_X13_I0+1+0+0], v[vgprValuB_X13_I0+0+0+0], a[16:31]
/*  mfmaIndex:210  */
	;; [unrolled: 2-line block ×14, first 2 shown]
/* sched write - iter 13 writesPerItem=4 */
s_waitcnt vmcnt(0)                                 // lgkmcnt=-1 vmcnt=0wait for global read before writing to local
_ds_store_b32 v[vgprLocalWriteAddrB], v[vgprG2LB+20] offset:640 // lwoB_0_0_5_0 = (0 + 0*LSCB)*(MT1J+PAD) + (5*LSPB) = 640
_ds_store_b32 v[vgprLocalWriteAddrB], v[vgprG2LB+21] offset:1664 // lwoB_0_1_5_0 = (1 + 0*LSCB)*(MT1J+PAD) + (5*LSPB) = 1664
_ds_store_b32 v[vgprLocalWriteAddrB], v[vgprG2LB+22] offset:2688 // lwoB_0_2_5_0 = (2 + 0*LSCB)*(MT1J+PAD) + (5*LSPB) = 2688
_ds_store_b32 v[vgprLocalWriteAddrB], v[vgprG2LB+23] offset:3712 // lwoB_0_3_5_0 = (3 + 0*LSCB)*(MT1J+PAD) + (5*LSPB) = 3712
v_mfma_f32_32x32x2_f32 a[208+0:223+0], v[vgprValuA_X13_I0+1+0+0], v[vgprValuB_X13_I0+3+0+0], a[208:223]
/*  mfmaIndex:223  */
v_mfma_f32_32x32x2_f32 a[192+0:207+0], v[vgprValuA_X13_I0+0+0+0], v[vgprValuB_X13_I0+3+0+0], a[192:207]


/* iter 14 (reset local read pointers iteration)  (swap local read pointers iteration)  */

/*  grEndMfmaIndex:2, lwStartMfmaIndex:37, lwEndMfmaIndex:252  */
/*  numMfmaForLR:2, barrierMfmaIndex:253, LocalWritePerMfma:0.070 */
/*  mfmaIndex:224  */
v_mfma_f32_32x32x2_f32 a[0+0:15+0], v[vgprValuA_X14_I0+0+0+0], v[vgprValuB_X14_I0+0+0+0], a[0:15]
/*  mfmaIndex:225  */
v_mfma_f32_32x32x2_f32 a[16+0:31+0], v[vgprValuA_X14_I0+1+0+0], v[vgprValuB_X14_I0+0+0+0], a[16:31]
	;; [unrolled: 2-line block ×13, first 2 shown]
/*  mfmaIndex:237  */
/* sched write - iter 14 writesPerItem=4 */
s_waitcnt vmcnt(0)                                 // lgkmcnt=-1 vmcnt=0wait for global read before writing to local
_ds_store_b32 v[vgprLocalWriteAddrB], v[vgprG2LB+24] offset:768 // lwoB_0_0_6_0 = (0 + 0*LSCB)*(MT1J+PAD) + (6*LSPB) = 768
_ds_store_b32 v[vgprLocalWriteAddrB], v[vgprG2LB+25] offset:1792 // lwoB_0_1_6_0 = (1 + 0*LSCB)*(MT1J+PAD) + (6*LSPB) = 1792
_ds_store_b32 v[vgprLocalWriteAddrB], v[vgprG2LB+26] offset:2816 // lwoB_0_2_6_0 = (2 + 0*LSCB)*(MT1J+PAD) + (6*LSPB) = 2816
_ds_store_b32 v[vgprLocalWriteAddrB], v[vgprG2LB+27] offset:3840 // lwoB_0_3_6_0 = (3 + 0*LSCB)*(MT1J+PAD) + (6*LSPB) = 3840
v_mfma_f32_32x32x2_f32 a[224+0:239+0], v[vgprValuA_X14_I0+2+0+0], v[vgprValuB_X14_I0+3+0+0], a[224:239]
/*  mfmaIndex:238  */
v_mfma_f32_32x32x2_f32 a[208+0:223+0], v[vgprValuA_X14_I0+1+0+0], v[vgprValuB_X14_I0+3+0+0], a[208:223]
/*  mfmaIndex:239  */

/* local read swap offsets a */

/* local read swap offsets b */

/* local read init pointers a */

/* localReadInitPointers */

/* local read init pointers b */

/* localReadInitPointers */
v_mfma_f32_32x32x2_f32 a[192+0:207+0], v[vgprValuA_X14_I0+0+0+0], v[vgprValuB_X14_I0+3+0+0], a[192:207]


/* iter 15 (swap and reset local write pointers iteration)  */

/*  grEndMfmaIndex:2, lwStartMfmaIndex:37, lwEndMfmaIndex:252  */
/*  numMfmaForLR:2, barrierMfmaIndex:253, LocalWritePerMfma:0.070 */
/*  mfmaIndex:240  */
v_mfma_f32_32x32x2_f32 a[0+0:15+0], v[vgprValuA_X15_I0+0+0+0], v[vgprValuB_X15_I0+0+0+0], a[0:15]
/*  mfmaIndex:241  */
v_mfma_f32_32x32x2_f32 a[16+0:31+0], v[vgprValuA_X15_I0+1+0+0], v[vgprValuB_X15_I0+0+0+0], a[16:31]
	;; [unrolled: 2-line block ×11, first 2 shown]
/*  mfmaIndex:251  */
/* sched write - iter 15 writesPerItem=4 */
s_waitcnt vmcnt(0)                                 // lgkmcnt=-1 vmcnt=0wait for global read before writing to local
_ds_store_b32 v[vgprLocalWriteAddrB], v[vgprG2LB+28] offset:896 // lwoB_0_0_7_0 = (0 + 0*LSCB)*(MT1J+PAD) + (7*LSPB) = 896
_ds_store_b32 v[vgprLocalWriteAddrB], v[vgprG2LB+29] offset:1920 // lwoB_0_1_7_0 = (1 + 0*LSCB)*(MT1J+PAD) + (7*LSPB) = 1920
_ds_store_b32 v[vgprLocalWriteAddrB], v[vgprG2LB+30] offset:2944 // lwoB_0_2_7_0 = (2 + 0*LSCB)*(MT1J+PAD) + (7*LSPB) = 2944
_ds_store_b32 v[vgprLocalWriteAddrB], v[vgprG2LB+31] offset:3968 // lwoB_0_3_7_0 = (3 + 0*LSCB)*(MT1J+PAD) + (7*LSPB) = 3968
v_mfma_f32_32x32x2_f32 a[176+0:191+0], v[vgprValuA_X15_I0+3+0+0], v[vgprValuB_X15_I0+2+0+0], a[176:191]
/*  mfmaIndex:252  */

/* local write swap offsets a */

/* local write swap offsets b */
v_mfma_f32_32x32x2_f32 a[240+0:255+0], v[vgprValuA_X15_I0+3+0+0], v[vgprValuB_X15_I0+3+0+0], a[240:255]
s_setprio 0                                        // store optimization
/*  mfmaIndex:253  */
s_waitcnt lgkmcnt(0)                               // lgkmcnt=0 vmcnt=-13wait for local write
// Skip force waitcnt0
s_barrier //
v_mfma_f32_32x32x2_f32 a[224+0:239+0], v[vgprValuA_X15_I0+2+0+0], v[vgprValuB_X15_I0+3+0+0], a[224:239]
/*  mfmaIndex:254  */
s_setprio 3                                        // store optimization
_ds_load_b32 v[vgprValuA_X0_I0+0], v[vgprLocalReadAddrA] offset:0 // L -> Reg lro=0 swapByteOffset=0 ti=128 vIdx=0 rIdx=0 oIdx=0 buffer=0 iui=0
_ds_load_b32 v[vgprValuB_X0_I0+0], v[vgprLocalReadAddrB] offset:0 // L -> Reg lro=0 swapByteOffset=0 ti=64 vIdx=0 rIdx=0 oIdx=0 buffer=0 iui=0
_ds_load_b32 v[vgprValuA_X0_I0+1], v[vgprLocalReadAddrA] offset:4 // L -> Reg lro=0 swapByteOffset=0 ti=128 vIdx=0 rIdx=0 oIdx=0 buffer=0 iui=0
_ds_load_b32 v[vgprValuA_X0_I0+2], v[vgprLocalReadAddrA] offset:512 // L -> Reg lro=0 swapByteOffset=0 ti=128 vIdx=1 rIdx=0 oIdx=0 buffer=0 iui=0
	;; [unrolled: 1-line block ×3, first 2 shown]
_ds_load_b32 v[vgprValuB_X0_I0+1], v[vgprLocalReadAddrB] offset:256 // L -> Reg lro=0 swapByteOffset=0 ti=64 vIdx=1 rIdx=0 oIdx=0 buffer=0 iui=0
v_mfma_f32_32x32x2_f32 a[208+0:223+0], v[vgprValuA_X15_I0+1+0+0], v[vgprValuB_X15_I0+3+0+0], a[208:223]
/*  mfmaIndex:255  */
_ds_load_b32 v[vgprValuB_X0_I0+2], v[vgprLocalReadAddrB] offset:512 // L -> Reg lro=0 swapByteOffset=0 ti=64 vIdx=2 rIdx=0 oIdx=0 buffer=0 iui=0
_ds_load_b32 v[vgprValuB_X0_I0+3], v[vgprLocalReadAddrB] offset:768 // L -> Reg lro=0 swapByteOffset=0 ti=64 vIdx=3 rIdx=0 oIdx=0 buffer=0 iui=0
v_mfma_f32_32x32x2_f32 a[192+0:207+0], v[vgprValuA_X15_I0+0+0+0], v[vgprValuB_X15_I0+3+0+0], a[192:207]
s_setprio 0                                        // store optimization

label_0014:


/******************************************/
/* Opt. NoLoadLoop Without PAP - Begin                                      */
/******************************************/

s_cmpk_eq_u32 s[sgprBeta], 0x0                     // Beta == 0
s_cbranch_scc0 OptNLL_End_17                       // Branch if Beta is not zero

s_cmp_eq_u32 s[sgprAlpha], 1.0                     // Alpha == 1.0 ?
s_cbranch_scc0 OptNLL_End_17                       // branch if alpha != 1

s_and_b32 s32, 255, s[sgprSizeI]                   // s32 = s[sgprSizeI] % 256
s_add_u32 s33, -0x1, s[sgprNumWorkGroups0]         // 
s_cmp_ge_u32 s[sgprWorkGroup0], s33                // wg0 >= nwg0-1 ?
s_cselect_b32 s32, s32, 0                          // set rMT0
s_cmpk_gt_u32 s32, 0x0                             // rMT0 > 0
s_cbranch_scc1 OptNLL_End_17                       // jump if edges required
s_and_b32 s32, 255, s[sgprSizeJ]                   // s32 = s[sgprSizeJ] % 256
s_add_u32 s33, -0x1, s[sgprNumWorkGroups1]         // 
s_cmp_ge_u32 s[sgprWorkGroup1], s33                // wg1 >= nwg1-1
s_cselect_b32 s32, s32, 0                          // set rMT1
s_cmpk_gt_u32 s32, 0x0                             // rMT1 > 0
s_cbranch_scc1 OptNLL_End_17                       // jump if edges required

s_and_b32 s33, 31, s[sgprSizesSum+0]               // s33 = s[sgprSizesSum+0] % 32
s_cmp_eq_u32 s33, 0x0                              // numIterL == 0
s_cbranch_scc0 OptNLL_End_17                       // skip if tail loop required



/* iter 0 (last unrolled loop) */

/*  grEndMfmaIndex:0, lwStartMfmaIndex:252, lwEndMfmaIndex:252  */
/*  numMfmaForLR:2, barrierMfmaIndex:253, LocalWritePerMfma:0.070 */
/*  mfmaIndex:0  */
s_waitcnt lgkmcnt(0)                               // lgkmcnt=0 vmcnt=-1wait for prior local read local write old=0, new=0 newLW=0 newLR=0
v_mfma_f32_32x32x2_f32 a[0+0:15+0], v[vgprValuA_X0_I0+0+0+0], v[vgprValuB_X0_I0+0+0+0], a[0:15]
/*  mfmaIndex:1  */
_ds_load_b32 v[vgprValuA_X1_I0+0], v[vgprLocalReadAddrA] offset:2048 // L -> Reg lro=512 swapByteOffset=0 ti=128 vIdx=0 rIdx=0 oIdx=0 buffer=1 iui=0
_ds_load_b32 v[vgprValuB_X1_I0+0], v[vgprLocalReadAddrB] offset:2048 // L -> Reg lro=512 swapByteOffset=0 ti=64 vIdx=0 rIdx=0 oIdx=0 buffer=1 iui=0
_ds_load_b32 v[vgprValuA_X1_I0+1], v[vgprLocalReadAddrA] offset:2052 // L -> Reg lro=512 swapByteOffset=0 ti=128 vIdx=0 rIdx=0 oIdx=0 buffer=1 iui=0
_ds_load_b32 v[vgprValuA_X1_I0+2], v[vgprLocalReadAddrA] offset:2560 // L -> Reg lro=512 swapByteOffset=0 ti=128 vIdx=1 rIdx=0 oIdx=0 buffer=1 iui=0
	;; [unrolled: 1-line block ×3, first 2 shown]
_ds_load_b32 v[vgprValuB_X1_I0+1], v[vgprLocalReadAddrB] offset:2304 // L -> Reg lro=512 swapByteOffset=0 ti=64 vIdx=1 rIdx=0 oIdx=0 buffer=1 iui=0
v_mfma_f32_32x32x2_f32 a[16+0:31+0], v[vgprValuA_X0_I0+1+0+0], v[vgprValuB_X0_I0+0+0+0], a[16:31]
/*  mfmaIndex:2  */
_ds_load_b32 v[vgprValuB_X1_I0+2], v[vgprLocalReadAddrB] offset:2560 // L -> Reg lro=512 swapByteOffset=0 ti=64 vIdx=2 rIdx=0 oIdx=0 buffer=1 iui=0
_ds_load_b32 v[vgprValuB_X1_I0+3], v[vgprLocalReadAddrB] offset:2816 // L -> Reg lro=512 swapByteOffset=0 ti=64 vIdx=3 rIdx=0 oIdx=0 buffer=1 iui=0
/* localReadsVacancy: latencyLeft 9 */
_ds_load_b32 v[vgprValuA_X2_I0+0], v[vgprLocalReadAddrA] offset:4096 // L -> Reg lro=1024 swapByteOffset=0 ti=128 vIdx=0 rIdx=0 oIdx=0 buffer=2 iui=0
_ds_load_b32 v[vgprValuB_X2_I0+0], v[vgprLocalReadAddrB] offset:4096 // L -> Reg lro=1024 swapByteOffset=0 ti=64 vIdx=0 rIdx=0 oIdx=0 buffer=2 iui=0
_ds_load_b32 v[vgprValuA_X2_I0+1], v[vgprLocalReadAddrA] offset:4100 // L -> Reg lro=1024 swapByteOffset=0 ti=128 vIdx=0 rIdx=0 oIdx=0 buffer=2 iui=0
_ds_load_b32 v[vgprValuA_X2_I0+2], v[vgprLocalReadAddrA] offset:4608 // L -> Reg lro=1024 swapByteOffset=0 ti=128 vIdx=1 rIdx=0 oIdx=0 buffer=2 iui=0
v_mfma_f32_32x32x2_f32 a[32+0:47+0], v[vgprValuA_X0_I0+2+0+0], v[vgprValuB_X0_I0+0+0+0], a[32:47]
/*  mfmaIndex:3  */
/* localReadsVacancy: latencyLeft 13 */
_ds_load_b32 v[vgprValuA_X2_I0+3], v[vgprLocalReadAddrA] offset:4612 // L -> Reg lro=1024 swapByteOffset=0 ti=128 vIdx=1 rIdx=0 oIdx=0 buffer=2 iui=0
_ds_load_b32 v[vgprValuB_X2_I0+1], v[vgprLocalReadAddrB] offset:4352 // L -> Reg lro=1024 swapByteOffset=0 ti=64 vIdx=1 rIdx=0 oIdx=0 buffer=2 iui=0
_ds_load_b32 v[vgprValuB_X2_I0+2], v[vgprLocalReadAddrB] offset:4608 // L -> Reg lro=1024 swapByteOffset=0 ti=64 vIdx=2 rIdx=0 oIdx=0 buffer=2 iui=0
	;; [unrolled: 1-line block ×3, first 2 shown]
_ds_load_b32 v[vgprValuA_X3_I0+0], v[vgprLocalReadAddrA] offset:6144 // L -> Reg lro=1536 swapByteOffset=0 ti=128 vIdx=0 rIdx=0 oIdx=0 buffer=3 iui=0
_ds_load_b32 v[vgprValuB_X3_I0+0], v[vgprLocalReadAddrB] offset:6144 // L -> Reg lro=1536 swapByteOffset=0 ti=64 vIdx=0 rIdx=0 oIdx=0 buffer=3 iui=0
v_mfma_f32_32x32x2_f32 a[48+0:63+0], v[vgprValuA_X0_I0+3+0+0], v[vgprValuB_X0_I0+0+0+0], a[48:63]
/*  mfmaIndex:4  */
/* localReadsVacancy: latencyLeft 13 */
_ds_load_b32 v[vgprValuA_X3_I0+1], v[vgprLocalReadAddrA] offset:6148 // L -> Reg lro=1536 swapByteOffset=0 ti=128 vIdx=0 rIdx=0 oIdx=0 buffer=3 iui=0
_ds_load_b32 v[vgprValuA_X3_I0+2], v[vgprLocalReadAddrA] offset:6656 // L -> Reg lro=1536 swapByteOffset=0 ti=128 vIdx=1 rIdx=0 oIdx=0 buffer=3 iui=0
	;; [unrolled: 1-line block ×3, first 2 shown]
_ds_load_b32 v[vgprValuB_X3_I0+1], v[vgprLocalReadAddrB] offset:6400 // L -> Reg lro=1536 swapByteOffset=0 ti=64 vIdx=1 rIdx=0 oIdx=0 buffer=3 iui=0
_ds_load_b32 v[vgprValuB_X3_I0+2], v[vgprLocalReadAddrB] offset:6656 // L -> Reg lro=1536 swapByteOffset=0 ti=64 vIdx=2 rIdx=0 oIdx=0 buffer=3 iui=0
	;; [unrolled: 1-line block ×3, first 2 shown]
v_mfma_f32_32x32x2_f32 a[112+0:127+0], v[vgprValuA_X0_I0+3+0+0], v[vgprValuB_X0_I0+1+0+0], a[112:127]
/*  mfmaIndex:5  */
/* localReadsVacancy: latencyLeft 13 */
_ds_load_b32 v[vgprValuA_X4_I0+0], v[vgprLocalReadAddrA] offset:8192 // L -> Reg lro=2048 swapByteOffset=0 ti=128 vIdx=0 rIdx=0 oIdx=0 buffer=4 iui=0
_ds_load_b32 v[vgprValuB_X4_I0+0], v[vgprLocalReadAddrB] offset:8192 // L -> Reg lro=2048 swapByteOffset=0 ti=64 vIdx=0 rIdx=0 oIdx=0 buffer=4 iui=0
_ds_load_b32 v[vgprValuA_X4_I0+1], v[vgprLocalReadAddrA] offset:8196 // L -> Reg lro=2048 swapByteOffset=0 ti=128 vIdx=0 rIdx=0 oIdx=0 buffer=4 iui=0
_ds_load_b32 v[vgprValuA_X4_I0+2], v[vgprLocalReadAddrA] offset:8704 // L -> Reg lro=2048 swapByteOffset=0 ti=128 vIdx=1 rIdx=0 oIdx=0 buffer=4 iui=0
	;; [unrolled: 1-line block ×3, first 2 shown]
_ds_load_b32 v[vgprValuB_X4_I0+1], v[vgprLocalReadAddrB] offset:8448 // L -> Reg lro=2048 swapByteOffset=0 ti=64 vIdx=1 rIdx=0 oIdx=0 buffer=4 iui=0
v_mfma_f32_32x32x2_f32 a[96+0:111+0], v[vgprValuA_X0_I0+2+0+0], v[vgprValuB_X0_I0+1+0+0], a[96:111]
/*  mfmaIndex:6  */
/* localReadsVacancy: latencyLeft 13 */
_ds_load_b32 v[vgprValuB_X4_I0+2], v[vgprLocalReadAddrB] offset:8704 // L -> Reg lro=2048 swapByteOffset=0 ti=64 vIdx=2 rIdx=0 oIdx=0 buffer=4 iui=0
_ds_load_b32 v[vgprValuB_X4_I0+3], v[vgprLocalReadAddrB] offset:8960 // L -> Reg lro=2048 swapByteOffset=0 ti=64 vIdx=3 rIdx=0 oIdx=0 buffer=4 iui=0
_ds_load_b32 v[vgprValuA_X5_I0+0], v[vgprLocalReadAddrA] offset:10240 // L -> Reg lro=2560 swapByteOffset=0 ti=128 vIdx=0 rIdx=0 oIdx=0 buffer=5 iui=0
_ds_load_b32 v[vgprValuB_X5_I0+0], v[vgprLocalReadAddrB] offset:10240 // L -> Reg lro=2560 swapByteOffset=0 ti=64 vIdx=0 rIdx=0 oIdx=0 buffer=5 iui=0
_ds_load_b32 v[vgprValuA_X5_I0+1], v[vgprLocalReadAddrA] offset:10244 // L -> Reg lro=2560 swapByteOffset=0 ti=128 vIdx=0 rIdx=0 oIdx=0 buffer=5 iui=0
_ds_load_b32 v[vgprValuA_X5_I0+2], v[vgprLocalReadAddrA] offset:10752 // L -> Reg lro=2560 swapByteOffset=0 ti=128 vIdx=1 rIdx=0 oIdx=0 buffer=5 iui=0
v_mfma_f32_32x32x2_f32 a[80+0:95+0], v[vgprValuA_X0_I0+1+0+0], v[vgprValuB_X0_I0+1+0+0], a[80:95]
/*  mfmaIndex:7  */
/* localReadsVacancy: latencyLeft 13 */
_ds_load_b32 v[vgprValuA_X5_I0+3], v[vgprLocalReadAddrA] offset:10756 // L -> Reg lro=2560 swapByteOffset=0 ti=128 vIdx=1 rIdx=0 oIdx=0 buffer=5 iui=0
_ds_load_b32 v[vgprValuB_X5_I0+1], v[vgprLocalReadAddrB] offset:10496 // L -> Reg lro=2560 swapByteOffset=0 ti=64 vIdx=1 rIdx=0 oIdx=0 buffer=5 iui=0
_ds_load_b32 v[vgprValuB_X5_I0+2], v[vgprLocalReadAddrB] offset:10752 // L -> Reg lro=2560 swapByteOffset=0 ti=64 vIdx=2 rIdx=0 oIdx=0 buffer=5 iui=0
_ds_load_b32 v[vgprValuB_X5_I0+3], v[vgprLocalReadAddrB] offset:11008 // L -> Reg lro=2560 swapByteOffset=0 ti=64 vIdx=3 rIdx=0 oIdx=0 buffer=5 iui=0
_ds_load_b32 v[vgprValuA_X6_I0+0], v[vgprLocalReadAddrA] offset:12288 // L -> Reg lro=3072 swapByteOffset=0 ti=128 vIdx=0 rIdx=0 oIdx=0 buffer=6 iui=0
_ds_load_b32 v[vgprValuB_X6_I0+0], v[vgprLocalReadAddrB] offset:12288 // L -> Reg lro=3072 swapByteOffset=0 ti=64 vIdx=0 rIdx=0 oIdx=0 buffer=6 iui=0
v_mfma_f32_32x32x2_f32 a[64+0:79+0], v[vgprValuA_X0_I0+0+0+0], v[vgprValuB_X0_I0+1+0+0], a[64:79]
/*  mfmaIndex:8  */
/* localReadsVacancy: latencyLeft 13 */
_ds_load_b32 v[vgprValuA_X6_I0+1], v[vgprLocalReadAddrA] offset:12292 // L -> Reg lro=3072 swapByteOffset=0 ti=128 vIdx=0 rIdx=0 oIdx=0 buffer=6 iui=0
_ds_load_b32 v[vgprValuA_X6_I0+2], v[vgprLocalReadAddrA] offset:12800 // L -> Reg lro=3072 swapByteOffset=0 ti=128 vIdx=1 rIdx=0 oIdx=0 buffer=6 iui=0
	;; [unrolled: 1-line block ×3, first 2 shown]
_ds_load_b32 v[vgprValuB_X6_I0+1], v[vgprLocalReadAddrB] offset:12544 // L -> Reg lro=3072 swapByteOffset=0 ti=64 vIdx=1 rIdx=0 oIdx=0 buffer=6 iui=0
_ds_load_b32 v[vgprValuB_X6_I0+2], v[vgprLocalReadAddrB] offset:12800 // L -> Reg lro=3072 swapByteOffset=0 ti=64 vIdx=2 rIdx=0 oIdx=0 buffer=6 iui=0
	;; [unrolled: 1-line block ×3, first 2 shown]
v_mfma_f32_32x32x2_f32 a[128+0:143+0], v[vgprValuA_X0_I0+0+0+0], v[vgprValuB_X0_I0+2+0+0], a[128:143]
/*  mfmaIndex:9  */
/* localReadsVacancy: latencyLeft 13 */
_ds_load_b32 v[vgprValuA_X7_I0+0], v[vgprLocalReadAddrA] offset:14336 // L -> Reg lro=3584 swapByteOffset=0 ti=128 vIdx=0 rIdx=0 oIdx=0 buffer=7 iui=0
_ds_load_b32 v[vgprValuB_X7_I0+0], v[vgprLocalReadAddrB] offset:14336 // L -> Reg lro=3584 swapByteOffset=0 ti=64 vIdx=0 rIdx=0 oIdx=0 buffer=7 iui=0
_ds_load_b32 v[vgprValuA_X7_I0+1], v[vgprLocalReadAddrA] offset:14340 // L -> Reg lro=3584 swapByteOffset=0 ti=128 vIdx=0 rIdx=0 oIdx=0 buffer=7 iui=0
_ds_load_b32 v[vgprValuA_X7_I0+2], v[vgprLocalReadAddrA] offset:14848 // L -> Reg lro=3584 swapByteOffset=0 ti=128 vIdx=1 rIdx=0 oIdx=0 buffer=7 iui=0
	;; [unrolled: 1-line block ×3, first 2 shown]
_ds_load_b32 v[vgprValuB_X7_I0+1], v[vgprLocalReadAddrB] offset:14592 // L -> Reg lro=3584 swapByteOffset=0 ti=64 vIdx=1 rIdx=0 oIdx=0 buffer=7 iui=0
v_mfma_f32_32x32x2_f32 a[144+0:159+0], v[vgprValuA_X0_I0+1+0+0], v[vgprValuB_X0_I0+2+0+0], a[144:159]
/*  mfmaIndex:10  */
/* localReadsVacancy: latencyLeft 13 */
_ds_load_b32 v[vgprValuB_X7_I0+2], v[vgprLocalReadAddrB] offset:14848 // L -> Reg lro=3584 swapByteOffset=0 ti=64 vIdx=2 rIdx=0 oIdx=0 buffer=7 iui=0
_ds_load_b32 v[vgprValuB_X7_I0+3], v[vgprLocalReadAddrB] offset:15104 // L -> Reg lro=3584 swapByteOffset=0 ti=64 vIdx=3 rIdx=0 oIdx=0 buffer=7 iui=0
_ds_load_b32 v[vgprValuA_X8_I0+0], v[vgprLocalReadAddrA] offset:16384 // L -> Reg lro=4096 swapByteOffset=0 ti=128 vIdx=0 rIdx=0 oIdx=0 buffer=8 iui=0
_ds_load_b32 v[vgprValuB_X8_I0+0], v[vgprLocalReadAddrB] offset:16384 // L -> Reg lro=4096 swapByteOffset=0 ti=64 vIdx=0 rIdx=0 oIdx=0 buffer=8 iui=0
_ds_load_b32 v[vgprValuA_X8_I0+1], v[vgprLocalReadAddrA] offset:16388 // L -> Reg lro=4096 swapByteOffset=0 ti=128 vIdx=0 rIdx=0 oIdx=0 buffer=8 iui=0
_ds_load_b32 v[vgprValuA_X8_I0+2], v[vgprLocalReadAddrA] offset:16896 // L -> Reg lro=4096 swapByteOffset=0 ti=128 vIdx=1 rIdx=0 oIdx=0 buffer=8 iui=0
v_mfma_f32_32x32x2_f32 a[160+0:175+0], v[vgprValuA_X0_I0+2+0+0], v[vgprValuB_X0_I0+2+0+0], a[160:175]
/*  mfmaIndex:11  */
/* localReadsVacancy: latencyLeft 13 */
_ds_load_b32 v[vgprValuA_X8_I0+3], v[vgprLocalReadAddrA] offset:16900 // L -> Reg lro=4096 swapByteOffset=0 ti=128 vIdx=1 rIdx=0 oIdx=0 buffer=8 iui=0
_ds_load_b32 v[vgprValuB_X8_I0+1], v[vgprLocalReadAddrB] offset:16640 // L -> Reg lro=4096 swapByteOffset=0 ti=64 vIdx=1 rIdx=0 oIdx=0 buffer=8 iui=0
_ds_load_b32 v[vgprValuB_X8_I0+2], v[vgprLocalReadAddrB] offset:16896 // L -> Reg lro=4096 swapByteOffset=0 ti=64 vIdx=2 rIdx=0 oIdx=0 buffer=8 iui=0
	;; [unrolled: 1-line block ×3, first 2 shown]
_ds_load_b32 v[vgprValuA_X9_I0+0], v[vgprLocalReadAddrA] offset:18432 // L -> Reg lro=4608 swapByteOffset=0 ti=128 vIdx=0 rIdx=0 oIdx=0 buffer=9 iui=0
_ds_load_b32 v[vgprValuB_X9_I0+0], v[vgprLocalReadAddrB] offset:18432 // L -> Reg lro=4608 swapByteOffset=0 ti=64 vIdx=0 rIdx=0 oIdx=0 buffer=9 iui=0
v_mfma_f32_32x32x2_f32 a[176+0:191+0], v[vgprValuA_X0_I0+3+0+0], v[vgprValuB_X0_I0+2+0+0], a[176:191]
/*  mfmaIndex:12  */
/* localReadsVacancy: latencyLeft 13 */
_ds_load_b32 v[vgprValuA_X9_I0+1], v[vgprLocalReadAddrA] offset:18436 // L -> Reg lro=4608 swapByteOffset=0 ti=128 vIdx=0 rIdx=0 oIdx=0 buffer=9 iui=0
_ds_load_b32 v[vgprValuA_X9_I0+2], v[vgprLocalReadAddrA] offset:18944 // L -> Reg lro=4608 swapByteOffset=0 ti=128 vIdx=1 rIdx=0 oIdx=0 buffer=9 iui=0
	;; [unrolled: 1-line block ×3, first 2 shown]
_ds_load_b32 v[vgprValuB_X9_I0+1], v[vgprLocalReadAddrB] offset:18688 // L -> Reg lro=4608 swapByteOffset=0 ti=64 vIdx=1 rIdx=0 oIdx=0 buffer=9 iui=0
_ds_load_b32 v[vgprValuB_X9_I0+2], v[vgprLocalReadAddrB] offset:18944 // L -> Reg lro=4608 swapByteOffset=0 ti=64 vIdx=2 rIdx=0 oIdx=0 buffer=9 iui=0
	;; [unrolled: 1-line block ×3, first 2 shown]
v_mfma_f32_32x32x2_f32 a[240+0:255+0], v[vgprValuA_X0_I0+3+0+0], v[vgprValuB_X0_I0+3+0+0], a[240:255]
/*  mfmaIndex:13  */
/* localReadsVacancy: latencyLeft 13 */
_ds_load_b32 v[vgprValuA_X10_I0+0], v[vgprLocalReadAddrA] offset:20480 // L -> Reg lro=5120 swapByteOffset=0 ti=128 vIdx=0 rIdx=0 oIdx=0 buffer=10 iui=0
_ds_load_b32 v[vgprValuB_X10_I0+0], v[vgprLocalReadAddrB] offset:20480 // L -> Reg lro=5120 swapByteOffset=0 ti=64 vIdx=0 rIdx=0 oIdx=0 buffer=10 iui=0
_ds_load_b32 v[vgprValuA_X10_I0+1], v[vgprLocalReadAddrA] offset:20484 // L -> Reg lro=5120 swapByteOffset=0 ti=128 vIdx=0 rIdx=0 oIdx=0 buffer=10 iui=0
_ds_load_b32 v[vgprValuA_X10_I0+2], v[vgprLocalReadAddrA] offset:20992 // L -> Reg lro=5120 swapByteOffset=0 ti=128 vIdx=1 rIdx=0 oIdx=0 buffer=10 iui=0
	;; [unrolled: 1-line block ×3, first 2 shown]
_ds_load_b32 v[vgprValuB_X10_I0+1], v[vgprLocalReadAddrB] offset:20736 // L -> Reg lro=5120 swapByteOffset=0 ti=64 vIdx=1 rIdx=0 oIdx=0 buffer=10 iui=0
v_mfma_f32_32x32x2_f32 a[224+0:239+0], v[vgprValuA_X0_I0+2+0+0], v[vgprValuB_X0_I0+3+0+0], a[224:239]
/*  mfmaIndex:14  */
/* localReadsVacancy: latencyLeft 13 */
_ds_load_b32 v[vgprValuB_X10_I0+2], v[vgprLocalReadAddrB] offset:20992 // L -> Reg lro=5120 swapByteOffset=0 ti=64 vIdx=2 rIdx=0 oIdx=0 buffer=10 iui=0
_ds_load_b32 v[vgprValuB_X10_I0+3], v[vgprLocalReadAddrB] offset:21248 // L -> Reg lro=5120 swapByteOffset=0 ti=64 vIdx=3 rIdx=0 oIdx=0 buffer=10 iui=0
_ds_load_b32 v[vgprValuA_X11_I0+0], v[vgprLocalReadAddrA] offset:22528 // L -> Reg lro=5632 swapByteOffset=0 ti=128 vIdx=0 rIdx=0 oIdx=0 buffer=11 iui=0
_ds_load_b32 v[vgprValuB_X11_I0+0], v[vgprLocalReadAddrB] offset:22528 // L -> Reg lro=5632 swapByteOffset=0 ti=64 vIdx=0 rIdx=0 oIdx=0 buffer=11 iui=0
_ds_load_b32 v[vgprValuA_X11_I0+1], v[vgprLocalReadAddrA] offset:22532 // L -> Reg lro=5632 swapByteOffset=0 ti=128 vIdx=0 rIdx=0 oIdx=0 buffer=11 iui=0
_ds_load_b32 v[vgprValuA_X11_I0+2], v[vgprLocalReadAddrA] offset:23040 // L -> Reg lro=5632 swapByteOffset=0 ti=128 vIdx=1 rIdx=0 oIdx=0 buffer=11 iui=0
v_mfma_f32_32x32x2_f32 a[208+0:223+0], v[vgprValuA_X0_I0+1+0+0], v[vgprValuB_X0_I0+3+0+0], a[208:223]
/*  mfmaIndex:15  */
/* localReadsVacancy: latencyLeft 13 */
_ds_load_b32 v[vgprValuA_X11_I0+3], v[vgprLocalReadAddrA] offset:23044 // L -> Reg lro=5632 swapByteOffset=0 ti=128 vIdx=1 rIdx=0 oIdx=0 buffer=11 iui=0
_ds_load_b32 v[vgprValuB_X11_I0+1], v[vgprLocalReadAddrB] offset:22784 // L -> Reg lro=5632 swapByteOffset=0 ti=64 vIdx=1 rIdx=0 oIdx=0 buffer=11 iui=0
_ds_load_b32 v[vgprValuB_X11_I0+2], v[vgprLocalReadAddrB] offset:23040 // L -> Reg lro=5632 swapByteOffset=0 ti=64 vIdx=2 rIdx=0 oIdx=0 buffer=11 iui=0
	;; [unrolled: 1-line block ×3, first 2 shown]
_ds_load_b32 v[vgprValuA_X12_I0+0], v[vgprLocalReadAddrA] offset:24576 // L -> Reg lro=6144 swapByteOffset=0 ti=128 vIdx=0 rIdx=0 oIdx=0 buffer=12 iui=0
_ds_load_b32 v[vgprValuB_X12_I0+0], v[vgprLocalReadAddrB] offset:24576 // L -> Reg lro=6144 swapByteOffset=0 ti=64 vIdx=0 rIdx=0 oIdx=0 buffer=12 iui=0
v_mfma_f32_32x32x2_f32 a[192+0:207+0], v[vgprValuA_X0_I0+0+0+0], v[vgprValuB_X0_I0+3+0+0], a[192:207]
/* numPrefetchIter=0 */
/* dataAtIterA=-1 numReadsIterA=1 skipReadsIterA=1 readsPerIterA=4 */
/* dataAtIterB=-1 numReadsIterB=1 skipReadsIterB=1 readsPerIterB=4 */


/* iter 1 (last unrolled loop) */

/*  grEndMfmaIndex:0, lwStartMfmaIndex:252, lwEndMfmaIndex:252  */
/*  numMfmaForLR:2, barrierMfmaIndex:253, LocalWritePerMfma:0.070 */
/*  mfmaIndex:16  */
/* localReadsVacancy: latencyLeft 13 */
_ds_load_b32 v[vgprValuA_X12_I0+1], v[vgprLocalReadAddrA] offset:24580 // L -> Reg lro=6144 swapByteOffset=0 ti=128 vIdx=0 rIdx=0 oIdx=0 buffer=12 iui=0
_ds_load_b32 v[vgprValuA_X12_I0+2], v[vgprLocalReadAddrA] offset:25088 // L -> Reg lro=6144 swapByteOffset=0 ti=128 vIdx=1 rIdx=0 oIdx=0 buffer=12 iui=0
	;; [unrolled: 1-line block ×3, first 2 shown]
_ds_load_b32 v[vgprValuB_X12_I0+1], v[vgprLocalReadAddrB] offset:24832 // L -> Reg lro=6144 swapByteOffset=0 ti=64 vIdx=1 rIdx=0 oIdx=0 buffer=12 iui=0
_ds_load_b32 v[vgprValuB_X12_I0+2], v[vgprLocalReadAddrB] offset:25088 // L -> Reg lro=6144 swapByteOffset=0 ti=64 vIdx=2 rIdx=0 oIdx=0 buffer=12 iui=0
	;; [unrolled: 1-line block ×3, first 2 shown]
s_waitcnt lgkmcnt(15)                              // lgkmcnt=0 vmcnt=-1wait for prior local read local write old=8, new=8 newLW=0 newLR=0
v_mfma_f32_32x32x2_f32 a[0+0:15+0], v[vgprValuA_X1_I0+0+0+0], v[vgprValuB_X1_I0+0+0+0], a[0:15]
/*  mfmaIndex:17  */
/* localReadsVacancy: latencyLeft 13 */
_ds_load_b32 v[vgprValuA_X13_I0+0], v[vgprLocalReadAddrA] offset:26624 // L -> Reg lro=6656 swapByteOffset=0 ti=128 vIdx=0 rIdx=0 oIdx=0 buffer=13 iui=0
_ds_load_b32 v[vgprValuB_X13_I0+0], v[vgprLocalReadAddrB] offset:26624 // L -> Reg lro=6656 swapByteOffset=0 ti=64 vIdx=0 rIdx=0 oIdx=0 buffer=13 iui=0
_ds_load_b32 v[vgprValuA_X13_I0+1], v[vgprLocalReadAddrA] offset:26628 // L -> Reg lro=6656 swapByteOffset=0 ti=128 vIdx=0 rIdx=0 oIdx=0 buffer=13 iui=0
_ds_load_b32 v[vgprValuA_X13_I0+2], v[vgprLocalReadAddrA] offset:27136 // L -> Reg lro=6656 swapByteOffset=0 ti=128 vIdx=1 rIdx=0 oIdx=0 buffer=13 iui=0
	;; [unrolled: 1-line block ×3, first 2 shown]
_ds_load_b32 v[vgprValuB_X13_I0+1], v[vgprLocalReadAddrB] offset:26880 // L -> Reg lro=6656 swapByteOffset=0 ti=64 vIdx=1 rIdx=0 oIdx=0 buffer=13 iui=0
v_mfma_f32_32x32x2_f32 a[16+0:31+0], v[vgprValuA_X1_I0+1+0+0], v[vgprValuB_X1_I0+0+0+0], a[16:31]
/*  mfmaIndex:18  */
/* localReadsVacancy: latencyLeft 13 */
_ds_load_b32 v[vgprValuB_X13_I0+2], v[vgprLocalReadAddrB] offset:27136 // L -> Reg lro=6656 swapByteOffset=0 ti=64 vIdx=2 rIdx=0 oIdx=0 buffer=13 iui=0
_ds_load_b32 v[vgprValuB_X13_I0+3], v[vgprLocalReadAddrB] offset:27392 // L -> Reg lro=6656 swapByteOffset=0 ti=64 vIdx=3 rIdx=0 oIdx=0 buffer=13 iui=0
_ds_load_b32 v[vgprValuA_X14_I0+0], v[vgprLocalReadAddrA] offset:28672 // L -> Reg lro=7168 swapByteOffset=0 ti=128 vIdx=0 rIdx=0 oIdx=0 buffer=14 iui=0
_ds_load_b32 v[vgprValuB_X14_I0+0], v[vgprLocalReadAddrB] offset:28672 // L -> Reg lro=7168 swapByteOffset=0 ti=64 vIdx=0 rIdx=0 oIdx=0 buffer=14 iui=0
_ds_load_b32 v[vgprValuA_X14_I0+1], v[vgprLocalReadAddrA] offset:28676 // L -> Reg lro=7168 swapByteOffset=0 ti=128 vIdx=0 rIdx=0 oIdx=0 buffer=14 iui=0
_ds_load_b32 v[vgprValuA_X14_I0+2], v[vgprLocalReadAddrA] offset:29184 // L -> Reg lro=7168 swapByteOffset=0 ti=128 vIdx=1 rIdx=0 oIdx=0 buffer=14 iui=0
v_mfma_f32_32x32x2_f32 a[32+0:47+0], v[vgprValuA_X1_I0+2+0+0], v[vgprValuB_X1_I0+0+0+0], a[32:47]
/*  mfmaIndex:19  */
/* localReadsVacancy: latencyLeft 13 */
_ds_load_b32 v[vgprValuA_X14_I0+3], v[vgprLocalReadAddrA] offset:29188 // L -> Reg lro=7168 swapByteOffset=0 ti=128 vIdx=1 rIdx=0 oIdx=0 buffer=14 iui=0
_ds_load_b32 v[vgprValuB_X14_I0+1], v[vgprLocalReadAddrB] offset:28928 // L -> Reg lro=7168 swapByteOffset=0 ti=64 vIdx=1 rIdx=0 oIdx=0 buffer=14 iui=0
_ds_load_b32 v[vgprValuB_X14_I0+2], v[vgprLocalReadAddrB] offset:29184 // L -> Reg lro=7168 swapByteOffset=0 ti=64 vIdx=2 rIdx=0 oIdx=0 buffer=14 iui=0
	;; [unrolled: 1-line block ×3, first 2 shown]
_ds_load_b32 v[vgprValuA_X15_I0+0], v[vgprLocalReadAddrA] offset:30720 // L -> Reg lro=7680 swapByteOffset=0 ti=128 vIdx=0 rIdx=0 oIdx=0 buffer=15 iui=0
_ds_load_b32 v[vgprValuB_X15_I0+0], v[vgprLocalReadAddrB] offset:30720 // L -> Reg lro=7680 swapByteOffset=0 ti=64 vIdx=0 rIdx=0 oIdx=0 buffer=15 iui=0
v_mfma_f32_32x32x2_f32 a[48+0:63+0], v[vgprValuA_X1_I0+3+0+0], v[vgprValuB_X1_I0+0+0+0], a[48:63]
/*  mfmaIndex:20  */
/* localReadsVacancy: latencyLeft 13 */
_ds_load_b32 v[vgprValuA_X15_I0+1], v[vgprLocalReadAddrA] offset:30724 // L -> Reg lro=7680 swapByteOffset=0 ti=128 vIdx=0 rIdx=0 oIdx=0 buffer=15 iui=0
_ds_load_b32 v[vgprValuA_X15_I0+2], v[vgprLocalReadAddrA] offset:31232 // L -> Reg lro=7680 swapByteOffset=0 ti=128 vIdx=1 rIdx=0 oIdx=0 buffer=15 iui=0
	;; [unrolled: 1-line block ×3, first 2 shown]
_ds_load_b32 v[vgprValuB_X15_I0+1], v[vgprLocalReadAddrB] offset:30976 // L -> Reg lro=7680 swapByteOffset=0 ti=64 vIdx=1 rIdx=0 oIdx=0 buffer=15 iui=0
_ds_load_b32 v[vgprValuB_X15_I0+2], v[vgprLocalReadAddrB] offset:31232 // L -> Reg lro=7680 swapByteOffset=0 ti=64 vIdx=2 rIdx=0 oIdx=0 buffer=15 iui=0
	;; [unrolled: 1-line block ×3, first 2 shown]
v_mfma_f32_32x32x2_f32 a[112+0:127+0], v[vgprValuA_X1_I0+3+0+0], v[vgprValuB_X1_I0+1+0+0], a[112:127]
/*  mfmaIndex:21  */
/* localReadsVacancy: latencyLeft 13 */
v_mfma_f32_32x32x2_f32 a[96+0:111+0], v[vgprValuA_X1_I0+2+0+0], v[vgprValuB_X1_I0+1+0+0], a[96:111]
/*  mfmaIndex:22  */
/* localReadsVacancy: latencyLeft 13 */
	;; [unrolled: 3-line block ×11, first 2 shown]
v_mfma_f32_32x32x2_f32 a[192+0:207+0], v[vgprValuA_X1_I0+0+0+0], v[vgprValuB_X1_I0+3+0+0], a[192:207]
/* numPrefetchIter=0 */
/* dataAtIterA=0 numReadsIterA=2 skipReadsIterA=1 readsPerIterA=4 */
/* dataAtIterB=0 numReadsIterB=2 skipReadsIterB=1 readsPerIterB=4 */


/* iter 2 (last unrolled loop) */

/*  grEndMfmaIndex:0, lwStartMfmaIndex:252, lwEndMfmaIndex:252  */
/*  numMfmaForLR:2, barrierMfmaIndex:253, LocalWritePerMfma:0.070 */
/*  mfmaIndex:32  */
/* localReadsVacancy: latencyLeft 13 */
s_waitcnt lgkmcnt(15)                              // lgkmcnt=0 vmcnt=-1wait for prior local read local write old=0, new=0 newLW=0 newLR=0
v_mfma_f32_32x32x2_f32 a[0+0:15+0], v[vgprValuA_X2_I0+0+0+0], v[vgprValuB_X2_I0+0+0+0], a[0:15]
/*  mfmaIndex:33  */
/* localReadsVacancy: latencyLeft 13 */
v_mfma_f32_32x32x2_f32 a[16+0:31+0], v[vgprValuA_X2_I0+1+0+0], v[vgprValuB_X2_I0+0+0+0], a[16:31]
/*  mfmaIndex:34  */
/* localReadsVacancy: latencyLeft 13 */
	;; [unrolled: 3-line block ×15, first 2 shown]
v_mfma_f32_32x32x2_f32 a[192+0:207+0], v[vgprValuA_X2_I0+0+0+0], v[vgprValuB_X2_I0+3+0+0], a[192:207]
/* numPrefetchIter=0 */
/* dataAtIterA=1 numReadsIterA=3 skipReadsIterA=1 readsPerIterA=4 */
/* dataAtIterB=1 numReadsIterB=3 skipReadsIterB=1 readsPerIterB=4 */


/* iter 3 (last unrolled loop) */

/*  grEndMfmaIndex:0, lwStartMfmaIndex:252, lwEndMfmaIndex:252  */
/*  numMfmaForLR:2, barrierMfmaIndex:253, LocalWritePerMfma:0.070 */
/*  mfmaIndex:48  */
/* localReadsVacancy: latencyLeft 13 */
s_waitcnt lgkmcnt(15)                              // lgkmcnt=0 vmcnt=-1wait for prior local read local write old=0, new=0 newLW=0 newLR=0
v_mfma_f32_32x32x2_f32 a[0+0:15+0], v[vgprValuA_X3_I0+0+0+0], v[vgprValuB_X3_I0+0+0+0], a[0:15]
/*  mfmaIndex:49  */
/* localReadsVacancy: latencyLeft 13 */
v_mfma_f32_32x32x2_f32 a[16+0:31+0], v[vgprValuA_X3_I0+1+0+0], v[vgprValuB_X3_I0+0+0+0], a[16:31]
/*  mfmaIndex:50  */
/* localReadsVacancy: latencyLeft 13 */
	;; [unrolled: 3-line block ×15, first 2 shown]
v_mfma_f32_32x32x2_f32 a[192+0:207+0], v[vgprValuA_X3_I0+0+0+0], v[vgprValuB_X3_I0+3+0+0], a[192:207]
/* numPrefetchIter=0 */
/* dataAtIterA=2 numReadsIterA=4 skipReadsIterA=1 readsPerIterA=4 */
/* dataAtIterB=2 numReadsIterB=4 skipReadsIterB=1 readsPerIterB=4 */


/* iter 4 (last unrolled loop) */

/*  grEndMfmaIndex:0, lwStartMfmaIndex:252, lwEndMfmaIndex:252  */
/*  numMfmaForLR:2, barrierMfmaIndex:253, LocalWritePerMfma:0.070 */
/*  mfmaIndex:64  */
/* localReadsVacancy: latencyLeft 13 */
s_waitcnt lgkmcnt(15)                              // lgkmcnt=0 vmcnt=-1wait for prior local read local write old=0, new=0 newLW=0 newLR=0
v_mfma_f32_32x32x2_f32 a[0+0:15+0], v[vgprValuA_X4_I0+0+0+0], v[vgprValuB_X4_I0+0+0+0], a[0:15]
/*  mfmaIndex:65  */
/* localReadsVacancy: latencyLeft 13 */
v_mfma_f32_32x32x2_f32 a[16+0:31+0], v[vgprValuA_X4_I0+1+0+0], v[vgprValuB_X4_I0+0+0+0], a[16:31]
/*  mfmaIndex:66  */
/* localReadsVacancy: latencyLeft 13 */
	;; [unrolled: 3-line block ×15, first 2 shown]
v_mfma_f32_32x32x2_f32 a[192+0:207+0], v[vgprValuA_X4_I0+0+0+0], v[vgprValuB_X4_I0+3+0+0], a[192:207]
/* numPrefetchIter=0 */
/* dataAtIterA=3 numReadsIterA=5 skipReadsIterA=1 readsPerIterA=4 */
/* dataAtIterB=3 numReadsIterB=5 skipReadsIterB=1 readsPerIterB=4 */


/* iter 5 (last unrolled loop) */

/*  grEndMfmaIndex:0, lwStartMfmaIndex:252, lwEndMfmaIndex:252  */
/*  numMfmaForLR:2, barrierMfmaIndex:253, LocalWritePerMfma:0.070 */
/*  mfmaIndex:80  */
/* localReadsVacancy: latencyLeft 13 */
s_waitcnt lgkmcnt(15)                              // lgkmcnt=0 vmcnt=-1wait for prior local read local write old=0, new=0 newLW=0 newLR=0
v_mfma_f32_32x32x2_f32 a[0+0:15+0], v[vgprValuA_X5_I0+0+0+0], v[vgprValuB_X5_I0+0+0+0], a[0:15]
/*  mfmaIndex:81  */
/* localReadsVacancy: latencyLeft 13 */
v_mfma_f32_32x32x2_f32 a[16+0:31+0], v[vgprValuA_X5_I0+1+0+0], v[vgprValuB_X5_I0+0+0+0], a[16:31]
/*  mfmaIndex:82  */
/* localReadsVacancy: latencyLeft 13 */
	;; [unrolled: 3-line block ×15, first 2 shown]
v_mfma_f32_32x32x2_f32 a[192+0:207+0], v[vgprValuA_X5_I0+0+0+0], v[vgprValuB_X5_I0+3+0+0], a[192:207]
/* numPrefetchIter=0 */
/* dataAtIterA=4 numReadsIterA=6 skipReadsIterA=1 readsPerIterA=4 */
/* dataAtIterB=4 numReadsIterB=6 skipReadsIterB=1 readsPerIterB=4 */


/* iter 6 (last unrolled loop) */

/*  grEndMfmaIndex:0, lwStartMfmaIndex:252, lwEndMfmaIndex:252  */
/*  numMfmaForLR:2, barrierMfmaIndex:253, LocalWritePerMfma:0.070 */
/*  mfmaIndex:96  */
/* localReadsVacancy: latencyLeft 13 */
s_waitcnt lgkmcnt(15)                              // lgkmcnt=0 vmcnt=-1wait for prior local read local write old=0, new=0 newLW=0 newLR=0
v_mfma_f32_32x32x2_f32 a[0+0:15+0], v[vgprValuA_X6_I0+0+0+0], v[vgprValuB_X6_I0+0+0+0], a[0:15]
/*  mfmaIndex:97  */
/* localReadsVacancy: latencyLeft 13 */
v_mfma_f32_32x32x2_f32 a[16+0:31+0], v[vgprValuA_X6_I0+1+0+0], v[vgprValuB_X6_I0+0+0+0], a[16:31]
/*  mfmaIndex:98  */
/* localReadsVacancy: latencyLeft 13 */
	;; [unrolled: 3-line block ×15, first 2 shown]
v_mfma_f32_32x32x2_f32 a[192+0:207+0], v[vgprValuA_X6_I0+0+0+0], v[vgprValuB_X6_I0+3+0+0], a[192:207]
/* numPrefetchIter=0 */
/* dataAtIterA=5 numReadsIterA=7 skipReadsIterA=1 readsPerIterA=4 */
/* dataAtIterB=5 numReadsIterB=7 skipReadsIterB=1 readsPerIterB=4 */


/* iter 7 (last unrolled loop) */

/*  grEndMfmaIndex:0, lwStartMfmaIndex:252, lwEndMfmaIndex:252  */
/*  numMfmaForLR:2, barrierMfmaIndex:253, LocalWritePerMfma:0.070 */
/*  mfmaIndex:112  */
/* localReadsVacancy: latencyLeft 13 */
s_waitcnt lgkmcnt(15)                              // lgkmcnt=0 vmcnt=-1wait for prior local read local write old=0, new=0 newLW=0 newLR=0
v_mfma_f32_32x32x2_f32 a[0+0:15+0], v[vgprValuA_X7_I0+0+0+0], v[vgprValuB_X7_I0+0+0+0], a[0:15]
/*  mfmaIndex:113  */
/* localReadsVacancy: latencyLeft 13 */
v_mfma_f32_32x32x2_f32 a[16+0:31+0], v[vgprValuA_X7_I0+1+0+0], v[vgprValuB_X7_I0+0+0+0], a[16:31]
/*  mfmaIndex:114  */
/* localReadsVacancy: latencyLeft 13 */
	;; [unrolled: 3-line block ×15, first 2 shown]
v_mfma_f32_32x32x2_f32 a[192+0:207+0], v[vgprValuA_X7_I0+0+0+0], v[vgprValuB_X7_I0+3+0+0], a[192:207]
/* numPrefetchIter=0 */
/* dataAtIterA=6 numReadsIterA=8 skipReadsIterA=1 readsPerIterA=4 */
/* dataAtIterB=6 numReadsIterB=8 skipReadsIterB=1 readsPerIterB=4 */


/* iter 8 (last unrolled loop) */

/*  grEndMfmaIndex:0, lwStartMfmaIndex:252, lwEndMfmaIndex:252  */
/*  numMfmaForLR:2, barrierMfmaIndex:253, LocalWritePerMfma:0.070 */
/*  mfmaIndex:128  */
/* localReadsVacancy: latencyLeft 13 */
s_waitcnt lgkmcnt(15)                              // lgkmcnt=0 vmcnt=-1wait for prior local read local write old=0, new=0 newLW=0 newLR=0
v_mfma_f32_32x32x2_f32 a[0+0:15+0], v[vgprValuA_X8_I0+0+0+0], v[vgprValuB_X8_I0+0+0+0], a[0:15]
/*  mfmaIndex:129  */
/* localReadsVacancy: latencyLeft 13 */
v_mfma_f32_32x32x2_f32 a[16+0:31+0], v[vgprValuA_X8_I0+1+0+0], v[vgprValuB_X8_I0+0+0+0], a[16:31]
/*  mfmaIndex:130  */
/* localReadsVacancy: latencyLeft 13 */
	;; [unrolled: 3-line block ×15, first 2 shown]
v_mfma_f32_32x32x2_f32 a[192+0:207+0], v[vgprValuA_X8_I0+0+0+0], v[vgprValuB_X8_I0+3+0+0], a[192:207]
/* numPrefetchIter=0 */
/* dataAtIterA=7 numReadsIterA=9 skipReadsIterA=1 readsPerIterA=4 */
/* dataAtIterB=7 numReadsIterB=9 skipReadsIterB=1 readsPerIterB=4 */


/* iter 9 (last unrolled loop) */

/*  grEndMfmaIndex:0, lwStartMfmaIndex:252, lwEndMfmaIndex:252  */
/*  numMfmaForLR:2, barrierMfmaIndex:253, LocalWritePerMfma:0.070 */
/*  mfmaIndex:144  */
/* localReadsVacancy: latencyLeft 13 */
s_waitcnt lgkmcnt(15)                              // lgkmcnt=0 vmcnt=-1wait for prior local read local write old=0, new=0 newLW=0 newLR=0
v_mfma_f32_32x32x2_f32 a[0+0:15+0], v[vgprValuA_X9_I0+0+0+0], v[vgprValuB_X9_I0+0+0+0], a[0:15]
/*  mfmaIndex:145  */
/* localReadsVacancy: latencyLeft 13 */
v_mfma_f32_32x32x2_f32 a[16+0:31+0], v[vgprValuA_X9_I0+1+0+0], v[vgprValuB_X9_I0+0+0+0], a[16:31]
/*  mfmaIndex:146  */
/* localReadsVacancy: latencyLeft 13 */
v_mfma_f32_32x32x2_f32 a[32+0:47+0], v[vgprValuA_X9_I0+2+0+0], v[vgprValuB_X9_I0+0+0+0], a[32:47]
/*  mfmaIndex:147  */
/* localReadsVacancy: latencyLeft 13 */
v_mfma_f32_32x32x2_f32 a[48+0:63+0], v[vgprValuA_X9_I0+3+0+0], v[vgprValuB_X9_I0+0+0+0], a[48:63]
/*  mfmaIndex:148  */
/* localReadsVacancy: latencyLeft 13 */
v_mfma_f32_32x32x2_f32 a[112+0:127+0], v[vgprValuA_X9_I0+3+0+0], v[vgprValuB_X9_I0+1+0+0], a[112:127]
/*  mfmaIndex:149  */
/* localReadsVacancy: latencyLeft 13 */
v_mfma_f32_32x32x2_f32 a[96+0:111+0], v[vgprValuA_X9_I0+2+0+0], v[vgprValuB_X9_I0+1+0+0], a[96:111]
/*  mfmaIndex:150  */
/* localReadsVacancy: latencyLeft 13 */
v_mfma_f32_32x32x2_f32 a[80+0:95+0], v[vgprValuA_X9_I0+1+0+0], v[vgprValuB_X9_I0+1+0+0], a[80:95]
/*  mfmaIndex:151  */
/* localReadsVacancy: latencyLeft 13 */
v_mfma_f32_32x32x2_f32 a[64+0:79+0], v[vgprValuA_X9_I0+0+0+0], v[vgprValuB_X9_I0+1+0+0], a[64:79]
/*  mfmaIndex:152  */
/* localReadsVacancy: latencyLeft 13 */
v_mfma_f32_32x32x2_f32 a[128+0:143+0], v[vgprValuA_X9_I0+0+0+0], v[vgprValuB_X9_I0+2+0+0], a[128:143]
/*  mfmaIndex:153  */
/* localReadsVacancy: latencyLeft 13 */
v_mfma_f32_32x32x2_f32 a[144+0:159+0], v[vgprValuA_X9_I0+1+0+0], v[vgprValuB_X9_I0+2+0+0], a[144:159]
/*  mfmaIndex:154  */
/* localReadsVacancy: latencyLeft 13 */
v_mfma_f32_32x32x2_f32 a[160+0:175+0], v[vgprValuA_X9_I0+2+0+0], v[vgprValuB_X9_I0+2+0+0], a[160:175]
/*  mfmaIndex:155  */
/* localReadsVacancy: latencyLeft 13 */
v_mfma_f32_32x32x2_f32 a[176+0:191+0], v[vgprValuA_X9_I0+3+0+0], v[vgprValuB_X9_I0+2+0+0], a[176:191]
/*  mfmaIndex:156  */
/* localReadsVacancy: latencyLeft 13 */
v_mfma_f32_32x32x2_f32 a[240+0:255+0], v[vgprValuA_X9_I0+3+0+0], v[vgprValuB_X9_I0+3+0+0], a[240:255]
/*  mfmaIndex:157  */
/* localReadsVacancy: latencyLeft 13 */
v_mfma_f32_32x32x2_f32 a[224+0:239+0], v[vgprValuA_X9_I0+2+0+0], v[vgprValuB_X9_I0+3+0+0], a[224:239]
/*  mfmaIndex:158  */
/* localReadsVacancy: latencyLeft 13 */
v_mfma_f32_32x32x2_f32 a[208+0:223+0], v[vgprValuA_X9_I0+1+0+0], v[vgprValuB_X9_I0+3+0+0], a[208:223]
/*  mfmaIndex:159  */
/* localReadsVacancy: latencyLeft 13 */
v_mfma_f32_32x32x2_f32 a[192+0:207+0], v[vgprValuA_X9_I0+0+0+0], v[vgprValuB_X9_I0+3+0+0], a[192:207]
/* numPrefetchIter=0 */
/* dataAtIterA=8 numReadsIterA=10 skipReadsIterA=1 readsPerIterA=4 */
/* dataAtIterB=8 numReadsIterB=10 skipReadsIterB=1 readsPerIterB=4 */


/* iter 10 (last unrolled loop) */

/*  grEndMfmaIndex:0, lwStartMfmaIndex:252, lwEndMfmaIndex:252  */
/*  numMfmaForLR:2, barrierMfmaIndex:253, LocalWritePerMfma:0.070 */
/*  mfmaIndex:160  */
/* localReadsVacancy: latencyLeft 13 */
s_waitcnt lgkmcnt(15)                              // lgkmcnt=0 vmcnt=-1wait for prior local read local write old=0, new=0 newLW=0 newLR=0
v_mfma_f32_32x32x2_f32 a[0+0:15+0], v[vgprValuA_X10_I0+0+0+0], v[vgprValuB_X10_I0+0+0+0], a[0:15]
/*  mfmaIndex:161  */
/* localReadsVacancy: latencyLeft 13 */
v_mfma_f32_32x32x2_f32 a[16+0:31+0], v[vgprValuA_X10_I0+1+0+0], v[vgprValuB_X10_I0+0+0+0], a[16:31]
/*  mfmaIndex:162  */
/* localReadsVacancy: latencyLeft 13 */
	;; [unrolled: 3-line block ×15, first 2 shown]
v_mfma_f32_32x32x2_f32 a[192+0:207+0], v[vgprValuA_X10_I0+0+0+0], v[vgprValuB_X10_I0+3+0+0], a[192:207]
/* numPrefetchIter=0 */
/* dataAtIterA=9 numReadsIterA=11 skipReadsIterA=1 readsPerIterA=4 */
/* dataAtIterB=9 numReadsIterB=11 skipReadsIterB=1 readsPerIterB=4 */


/* iter 11 (last unrolled loop) */

/*  grEndMfmaIndex:0, lwStartMfmaIndex:252, lwEndMfmaIndex:252  */
/*  numMfmaForLR:2, barrierMfmaIndex:253, LocalWritePerMfma:0.070 */
/*  mfmaIndex:176  */
/* localReadsVacancy: latencyLeft 13 */
s_waitcnt lgkmcnt(15)                              // lgkmcnt=0 vmcnt=-1wait for prior local read local write old=6, new=6 newLW=0 newLR=0
v_mfma_f32_32x32x2_f32 a[0+0:15+0], v[vgprValuA_X11_I0+0+0+0], v[vgprValuB_X11_I0+0+0+0], a[0:15]
/*  mfmaIndex:177  */
/* localReadsVacancy: latencyLeft 13 */
v_mfma_f32_32x32x2_f32 a[16+0:31+0], v[vgprValuA_X11_I0+1+0+0], v[vgprValuB_X11_I0+0+0+0], a[16:31]
/*  mfmaIndex:178  */
/* localReadsVacancy: latencyLeft 13 */
	;; [unrolled: 3-line block ×15, first 2 shown]
v_mfma_f32_32x32x2_f32 a[192+0:207+0], v[vgprValuA_X11_I0+0+0+0], v[vgprValuB_X11_I0+3+0+0], a[192:207]
/* numPrefetchIter=0 */
/* dataAtIterA=10 numReadsIterA=12 skipReadsIterA=1 readsPerIterA=4 */
/* dataAtIterB=10 numReadsIterB=12 skipReadsIterB=1 readsPerIterB=4 */


/* iter 12 (last unrolled loop) */

/*  grEndMfmaIndex:0, lwStartMfmaIndex:252, lwEndMfmaIndex:252  */
/*  numMfmaForLR:2, barrierMfmaIndex:253, LocalWritePerMfma:0.070 */
/*  mfmaIndex:192  */
/* localReadsVacancy: latencyLeft 13 */
s_waitcnt lgkmcnt(15)                              // lgkmcnt=0 vmcnt=-1wait for prior local read local write old=8, new=8 newLW=0 newLR=0
v_mfma_f32_32x32x2_f32 a[0+0:15+0], v[vgprValuA_X12_I0+0+0+0], v[vgprValuB_X12_I0+0+0+0], a[0:15]
/*  mfmaIndex:193  */
/* localReadsVacancy: latencyLeft 13 */
v_mfma_f32_32x32x2_f32 a[16+0:31+0], v[vgprValuA_X12_I0+1+0+0], v[vgprValuB_X12_I0+0+0+0], a[16:31]
/*  mfmaIndex:194  */
/* localReadsVacancy: latencyLeft 13 */
v_mfma_f32_32x32x2_f32 a[32+0:47+0], v[vgprValuA_X12_I0+2+0+0], v[vgprValuB_X12_I0+0+0+0], a[32:47]
/*  mfmaIndex:195  */
/* localReadsVacancy: latencyLeft 13 */
v_mfma_f32_32x32x2_f32 a[48+0:63+0], v[vgprValuA_X12_I0+3+0+0], v[vgprValuB_X12_I0+0+0+0], a[48:63]
/*  mfmaIndex:196  */
/* localReadsVacancy: latencyLeft 13 */
v_mfma_f32_32x32x2_f32 a[112+0:127+0], v[vgprValuA_X12_I0+3+0+0], v[vgprValuB_X12_I0+1+0+0], a[112:127]
/*  mfmaIndex:197  */
/* localReadsVacancy: latencyLeft 13 */
v_mfma_f32_32x32x2_f32 a[96+0:111+0], v[vgprValuA_X12_I0+2+0+0], v[vgprValuB_X12_I0+1+0+0], a[96:111]
/*  mfmaIndex:198  */
/* localReadsVacancy: latencyLeft 13 */
v_mfma_f32_32x32x2_f32 a[80+0:95+0], v[vgprValuA_X12_I0+1+0+0], v[vgprValuB_X12_I0+1+0+0], a[80:95]
/*  mfmaIndex:199  */
/* localReadsVacancy: latencyLeft 13 */
v_mfma_f32_32x32x2_f32 a[64+0:79+0], v[vgprValuA_X12_I0+0+0+0], v[vgprValuB_X12_I0+1+0+0], a[64:79]
/*  mfmaIndex:200  */
/* localReadsVacancy: latencyLeft 13 */
v_mfma_f32_32x32x2_f32 a[128+0:143+0], v[vgprValuA_X12_I0+0+0+0], v[vgprValuB_X12_I0+2+0+0], a[128:143]
/*  mfmaIndex:201  */
/* localReadsVacancy: latencyLeft 13 */
v_mfma_f32_32x32x2_f32 a[144+0:159+0], v[vgprValuA_X12_I0+1+0+0], v[vgprValuB_X12_I0+2+0+0], a[144:159]
/*  mfmaIndex:202  */
/* localReadsVacancy: latencyLeft 13 */
v_mfma_f32_32x32x2_f32 a[160+0:175+0], v[vgprValuA_X12_I0+2+0+0], v[vgprValuB_X12_I0+2+0+0], a[160:175]
/*  mfmaIndex:203  */
/* localReadsVacancy: latencyLeft 13 */
v_mfma_f32_32x32x2_f32 a[176+0:191+0], v[vgprValuA_X12_I0+3+0+0], v[vgprValuB_X12_I0+2+0+0], a[176:191]
/*  mfmaIndex:204  */
/* localReadsVacancy: latencyLeft 13 */
v_mfma_f32_32x32x2_f32 a[240+0:255+0], v[vgprValuA_X12_I0+3+0+0], v[vgprValuB_X12_I0+3+0+0], a[240:255]
/*  mfmaIndex:205  */
/* localReadsVacancy: latencyLeft 13 */
v_mfma_f32_32x32x2_f32 a[224+0:239+0], v[vgprValuA_X12_I0+2+0+0], v[vgprValuB_X12_I0+3+0+0], a[224:239]
/*  mfmaIndex:206  */
/* localReadsVacancy: latencyLeft 13 */
v_mfma_f32_32x32x2_f32 a[208+0:223+0], v[vgprValuA_X12_I0+1+0+0], v[vgprValuB_X12_I0+3+0+0], a[208:223]
/*  mfmaIndex:207  */
/* localReadsVacancy: latencyLeft 13 */
v_mfma_f32_32x32x2_f32 a[192+0:207+0], v[vgprValuA_X12_I0+0+0+0], v[vgprValuB_X12_I0+3+0+0], a[192:207]
/* numPrefetchIter=0 */
/* dataAtIterA=11 numReadsIterA=13 skipReadsIterA=1 readsPerIterA=4 */
/* dataAtIterB=11 numReadsIterB=13 skipReadsIterB=1 readsPerIterB=4 */


/* iter 13 (last unrolled loop) */

/*  grEndMfmaIndex:0, lwStartMfmaIndex:252, lwEndMfmaIndex:252  */
/*  numMfmaForLR:2, barrierMfmaIndex:253, LocalWritePerMfma:0.070 */
/*  mfmaIndex:208  */
/* localReadsVacancy: latencyLeft 13 */
s_waitcnt lgkmcnt(15)                              // lgkmcnt=0 vmcnt=-1wait for prior local read local write old=8, new=8 newLW=0 newLR=0
v_mfma_f32_32x32x2_f32 a[0+0:15+0], v[vgprValuA_X13_I0+0+0+0], v[vgprValuB_X13_I0+0+0+0], a[0:15]
/*  mfmaIndex:209  */
/* localReadsVacancy: latencyLeft 13 */
v_mfma_f32_32x32x2_f32 a[16+0:31+0], v[vgprValuA_X13_I0+1+0+0], v[vgprValuB_X13_I0+0+0+0], a[16:31]
/*  mfmaIndex:210  */
/* localReadsVacancy: latencyLeft 13 */
v_mfma_f32_32x32x2_f32 a[32+0:47+0], v[vgprValuA_X13_I0+2+0+0], v[vgprValuB_X13_I0+0+0+0], a[32:47]
/*  mfmaIndex:211  */
/* localReadsVacancy: latencyLeft 13 */
v_mfma_f32_32x32x2_f32 a[48+0:63+0], v[vgprValuA_X13_I0+3+0+0], v[vgprValuB_X13_I0+0+0+0], a[48:63]
/*  mfmaIndex:212  */
/* localReadsVacancy: latencyLeft 13 */
v_mfma_f32_32x32x2_f32 a[112+0:127+0], v[vgprValuA_X13_I0+3+0+0], v[vgprValuB_X13_I0+1+0+0], a[112:127]
/*  mfmaIndex:213  */
/* localReadsVacancy: latencyLeft 13 */
v_mfma_f32_32x32x2_f32 a[96+0:111+0], v[vgprValuA_X13_I0+2+0+0], v[vgprValuB_X13_I0+1+0+0], a[96:111]
/*  mfmaIndex:214  */
/* localReadsVacancy: latencyLeft 13 */
v_mfma_f32_32x32x2_f32 a[80+0:95+0], v[vgprValuA_X13_I0+1+0+0], v[vgprValuB_X13_I0+1+0+0], a[80:95]
/*  mfmaIndex:215  */
/* localReadsVacancy: latencyLeft 13 */
v_mfma_f32_32x32x2_f32 a[64+0:79+0], v[vgprValuA_X13_I0+0+0+0], v[vgprValuB_X13_I0+1+0+0], a[64:79]
/*  mfmaIndex:216  */
/* localReadsVacancy: latencyLeft 13 */
v_mfma_f32_32x32x2_f32 a[128+0:143+0], v[vgprValuA_X13_I0+0+0+0], v[vgprValuB_X13_I0+2+0+0], a[128:143]
/*  mfmaIndex:217  */
/* localReadsVacancy: latencyLeft 13 */
v_mfma_f32_32x32x2_f32 a[144+0:159+0], v[vgprValuA_X13_I0+1+0+0], v[vgprValuB_X13_I0+2+0+0], a[144:159]
/*  mfmaIndex:218  */
/* localReadsVacancy: latencyLeft 13 */
v_mfma_f32_32x32x2_f32 a[160+0:175+0], v[vgprValuA_X13_I0+2+0+0], v[vgprValuB_X13_I0+2+0+0], a[160:175]
/*  mfmaIndex:219  */
/* localReadsVacancy: latencyLeft 13 */
v_mfma_f32_32x32x2_f32 a[176+0:191+0], v[vgprValuA_X13_I0+3+0+0], v[vgprValuB_X13_I0+2+0+0], a[176:191]
/*  mfmaIndex:220  */
/* localReadsVacancy: latencyLeft 13 */
v_mfma_f32_32x32x2_f32 a[240+0:255+0], v[vgprValuA_X13_I0+3+0+0], v[vgprValuB_X13_I0+3+0+0], a[240:255]
/*  mfmaIndex:221  */
/* localReadsVacancy: latencyLeft 13 */
v_mfma_f32_32x32x2_f32 a[224+0:239+0], v[vgprValuA_X13_I0+2+0+0], v[vgprValuB_X13_I0+3+0+0], a[224:239]
/*  mfmaIndex:222  */
/* localReadsVacancy: latencyLeft 13 */
v_mfma_f32_32x32x2_f32 a[208+0:223+0], v[vgprValuA_X13_I0+1+0+0], v[vgprValuB_X13_I0+3+0+0], a[208:223]
/*  mfmaIndex:223  */
/* localReadsVacancy: latencyLeft 13 */
v_mfma_f32_32x32x2_f32 a[192+0:207+0], v[vgprValuA_X13_I0+0+0+0], v[vgprValuB_X13_I0+3+0+0], a[192:207]
/* numPrefetchIter=0 */
/* dataAtIterA=12 numReadsIterA=14 skipReadsIterA=1 readsPerIterA=4 */
/* dataAtIterB=12 numReadsIterB=14 skipReadsIterB=1 readsPerIterB=4 */


/* iter 14 (last unrolled loop) */

/*  grEndMfmaIndex:0, lwStartMfmaIndex:252, lwEndMfmaIndex:252  */
/*  numMfmaForLR:2, barrierMfmaIndex:253, LocalWritePerMfma:0.070 */
/*  mfmaIndex:224  */
/* localReadsVacancy: latencyLeft 13 */
s_waitcnt lgkmcnt(8)                               // lgkmcnt=0 vmcnt=-1wait for prior local read local write old=8, new=8 newLW=0 newLR=0
v_mfma_f32_32x32x2_f32 a[0+0:15+0], v[vgprValuA_X14_I0+0+0+0], v[vgprValuB_X14_I0+0+0+0], a[0:15]
/*  mfmaIndex:225  */
/* localReadsVacancy: latencyLeft 13 */
v_mfma_f32_32x32x2_f32 a[16+0:31+0], v[vgprValuA_X14_I0+1+0+0], v[vgprValuB_X14_I0+0+0+0], a[16:31]
/*  mfmaIndex:226  */
/* localReadsVacancy: latencyLeft 13 */
	;; [unrolled: 3-line block ×15, first 2 shown]
v_mfma_f32_32x32x2_f32 a[192+0:207+0], v[vgprValuA_X14_I0+0+0+0], v[vgprValuB_X14_I0+3+0+0], a[192:207]
/* numPrefetchIter=0 */
/* dataAtIterA=13 numReadsIterA=15 skipReadsIterA=1 readsPerIterA=4 */
/* dataAtIterB=13 numReadsIterB=15 skipReadsIterB=1 readsPerIterB=4 */


/* iter 15 (last unrolled loop) */

/*  grEndMfmaIndex:0, lwStartMfmaIndex:252, lwEndMfmaIndex:252  */
/*  numMfmaForLR:2, barrierMfmaIndex:253, LocalWritePerMfma:0.070 */
/*  mfmaIndex:240  */
s_waitcnt lgkmcnt(0)                               // lgkmcnt=0 vmcnt=-1wait for prior local read local write old=0, new=0 newLW=0 newLR=0
v_mfma_f32_32x32x2_f32 a[0+0:15+0], v[vgprValuA_X15_I0+0+0+0], v[vgprValuB_X15_I0+0+0+0], a[0:15]
/*  mfmaIndex:241  */
v_mfma_f32_32x32x2_f32 a[16+0:31+0], v[vgprValuA_X15_I0+1+0+0], v[vgprValuB_X15_I0+0+0+0], a[16:31]
/*  mfmaIndex:242  */
	;; [unrolled: 2-line block ×11, first 2 shown]
/* 1 LDS buffer: read-sync-write */
s_waitcnt lgkmcnt(0)                               // 
s_barrier                                          // 
v_mfma_f32_32x32x2_f32 a[176+0:191+0], v[vgprValuA_X15_I0+3+0+0], v[vgprValuB_X15_I0+2+0+0], a[176:191]
/*  mfmaIndex:252  */
s_setprio 3                                        // store optimization
v_mfma_f32_32x32x2_f32 a[240+0:255+0], v[vgprValuA_X15_I0+3+0+0], v[vgprValuB_X15_I0+3+0+0], a[240:255]
s_setprio 0                                        // store optimization
/*  mfmaIndex:253  */
v_mfma_f32_32x32x2_f32 a[224+0:239+0], v[vgprValuA_X15_I0+2+0+0], v[vgprValuB_X15_I0+3+0+0], a[224:239]
/*  mfmaIndex:254  */
s_setprio 3                                        // store optimization
v_mfma_f32_32x32x2_f32 a[208+0:223+0], v[vgprValuA_X15_I0+1+0+0], v[vgprValuB_X15_I0+3+0+0], a[208:223]
/*  mfmaIndex:255  */
v_mfma_f32_32x32x2_f32 a[192+0:207+0], v[vgprValuA_X15_I0+0+0+0], v[vgprValuB_X15_I0+3+0+0], a[192:207]
/* numPrefetchIter=0 */
/* dataAtIterA=14 numReadsIterA=15 skipReadsIterA=0 readsPerIterA=4 */
/* dataAtIterB=14 numReadsIterB=15 skipReadsIterB=0 readsPerIterB=4 */

/* Stores for OptNLL */
Summation_End_OptNLL_18:
s_setprio 0                                        // optimization store
/* endSummation: add vgpr [0...196) to pool */
.set NumFullBlocks, UNDEF
.set WgmRemainder1, UNDEF
.set MagicNumberWgmRemainder1, UNDEF
.set ScalarGlobalReadOffsetA, UNDEF
.set ScalarGlobalReadOffsetB, UNDEF

/* Mapping of Acc register -> C Vgpr register */
/* computeStoreVgprs */
v_lshrrev_b32 v4, 6, v[vgprSerial]                 // v4 = v[vgprSerial] / 64
v_lshrrev_b32 v1, 1, v4                            // v1 = v4 / 2
v_mul_lo_u32 v1, 0x20, v1                          // wave coordination offset 1
v_and_b32 v5, 31, v[vgprSerial]                    // v5 = v[vgprSerial] % 32
_v_add_lshl_u32 v1, v5, v1, 0                      // coordination 1 = vwb *(wave_id1 + tid1)
v_mul_lo_u32 v2, v1, s[sgprStrideC1J]              //  offset 1
v_mul_lo_u32 v3, v1, s[sgprStrideD1J]              //  offset 1
v_and_b32 v0, 63, v[vgprSerial]                    // v0 = v[vgprSerial] % 64
v_lshrrev_b32 v0, 5, v0                            // v0 = v0 / 32
v_lshlrev_b32 v0, 0x2, v0                          // thread0 * continuous_output
v_and_b32 v5, 1, v4                                // v5 = v4 % 2
v_mul_lo_u32 v5, 0x20, v5                          // wave coordination offset 0
_v_add_lshl_u32 v0, v5, v0, 1                      // coordination 0 = vwa *(wave_id0 + tid0)
s_mul_i32 s31, 256, s[sgprWorkGroup0]              // wgp0 * MT0
_v_add_u32 v0, s31, v0                             // coord 0 = (tid0/MI_m)*4 + waveG0*MIB_m + MT0*SG0
s_mul_i32 s31, 256, s[sgprWorkGroup1]              // wgp1 * MT1
_v_add_u32 v1, s31, v1                             // coord 1 = (tid0%MI_m) + waveG1*MIB_n + MT1*SG1
GW_B0_E0_21:

/* edge=0, allocate 2 sgpr. perBatchTmpS=2 perBatchMaskS=0 perElementMaskS=0 elementsPerBatch=61 */
/* optSingleColVgpr=1 optSharedColVgpr=0 optSGPRUsage=BufferLoad_Mask optSrdIncForRow=1 */

/******************************************/
/* Global Write Batch #0 (d1,d0,vc1,vc0) = */
/*    (0,0,0,0:vw4); (0,0,0,4:vw4); (0,1,0,0:vw4); (0,1,0,4:vw4); (0,2,0,0:vw4); (0,2,0,4:vw4); (0,3,0,0:vw4); (0,3,0,4:vw4); (0,4,0,0:vw4); (0,4,0,4:vw4); (0,5,0,0:vw4); (0,5,0,4:vw4); (0,6,0,0:vw4); (0,6,0,4:vw4); (0,7,0,0:vw4); (0,7,0,4:vw4); (1,0,0,0:vw4); (1,0,0,4:vw4); (1,1,0,0:vw4); (1,1,0,4:vw4); (1,2,0,0:vw4); (1,2,0,4:vw4); (1,3,0,0:vw4); (1,3,0,4:vw4); (1,4,0,0:vw4); (1,4,0,4:vw4); (1,5,0,0:vw4); (1,5,0,4:vw4); (1,6,0,0:vw4); (1,6,0,4:vw4); (1,7,0,0:vw4); (1,7,0,4:vw4); (2,0,0,0:vw4); (2,0,0,4:vw4); (2,1,0,0:vw4); (2,1,0,4:vw4); (2,2,0,0:vw4); (2,2,0,4:vw4); (2,3,0,0:vw4); (2,3,0,4:vw4); (2,4,0,0:vw4); (2,4,0,4:vw4); (2,5,0,0:vw4); (2,5,0,4:vw4); (2,6,0,0:vw4); (2,6,0,4:vw4); (2,7,0,0:vw4); (2,7,0,4:vw4); (3,0,0,0:vw4); (3,0,0,4:vw4); (3,1,0,0:vw4); (3,1,0,4:vw4); (3,2,0,0:vw4); (3,2,0,4:vw4); (3,3,0,0:vw4); (3,3,0,4:vw4); (3,4,0,0:vw4); (3,4,0,4:vw4); (3,5,0,0:vw4); (3,5,0,4:vw4); (3,6,0,0:vw4) */
/******************************************/

/* calc coords, apply mask, and issue loads (if necessary) */
/* (d1,vc1,d0,vc0)=(0,0,0,0) */
/* (d1,vc1,d0,vc0)=(0,0,0,4) */
	;; [unrolled: 1-line block ×61, first 2 shown]
_v_add_lshl_u32 v6, v3, v0, 0x2                    // optSingleColVgpr scaleToBpe: sharedAddrVgpr <- cinRowPtr + coord0, scaled by BPE. BSHERE:coord0=0, coord0Vgpr=0
v_accvgpr_read_b32 v[vgprValuC+8], acc0 // copy acc to vreg[0]
v_accvgpr_read_b32 v[vgprValuC+9], acc16 // copy acc to vreg[1]
v_accvgpr_read_b32 v[vgprValuC+10], acc1 // copy acc to vreg[2]
v_accvgpr_read_b32 v[vgprValuC+11], acc17 // copy acc to vreg[3]
v_accvgpr_read_b32 v[vgprValuC+12], acc2 // copy acc to vreg[4]
v_accvgpr_read_b32 v[vgprValuC+13], acc18 // copy acc to vreg[5]
v_accvgpr_read_b32 v[vgprValuC+14], acc3 // copy acc to vreg[6]
v_accvgpr_read_b32 v[vgprValuC+15], acc19 // copy acc to vreg[7]
v_accvgpr_read_b32 v[vgprValuC+16], acc4 // copy acc to vreg[8]
v_accvgpr_read_b32 v[vgprValuC+17], acc20 // copy acc to vreg[9]
v_accvgpr_read_b32 v[vgprValuC+18], acc5 // copy acc to vreg[10]
v_accvgpr_read_b32 v[vgprValuC+19], acc21 // copy acc to vreg[11]
v_accvgpr_read_b32 v[vgprValuC+20], acc6 // copy acc to vreg[12]
v_accvgpr_read_b32 v[vgprValuC+21], acc22 // copy acc to vreg[13]
v_accvgpr_read_b32 v[vgprValuC+22], acc7 // copy acc to vreg[14]
v_accvgpr_read_b32 v[vgprValuC+23], acc23 // copy acc to vreg[15]
v_accvgpr_read_b32 v[vgprValuC+24], acc8 // copy acc to vreg[16]
v_accvgpr_read_b32 v[vgprValuC+25], acc24 // copy acc to vreg[17]
v_accvgpr_read_b32 v[vgprValuC+26], acc9 // copy acc to vreg[18]
v_accvgpr_read_b32 v[vgprValuC+27], acc25 // copy acc to vreg[19]
v_accvgpr_read_b32 v[vgprValuC+28], acc10 // copy acc to vreg[20]
v_accvgpr_read_b32 v[vgprValuC+29], acc26 // copy acc to vreg[21]
v_accvgpr_read_b32 v[vgprValuC+30], acc11 // copy acc to vreg[22]
v_accvgpr_read_b32 v[vgprValuC+31], acc27 // copy acc to vreg[23]
v_accvgpr_read_b32 v[vgprValuC+32], acc12 // copy acc to vreg[24]
v_accvgpr_read_b32 v[vgprValuC+33], acc28 // copy acc to vreg[25]
v_accvgpr_read_b32 v[vgprValuC+34], acc13 // copy acc to vreg[26]
v_accvgpr_read_b32 v[vgprValuC+35], acc29 // copy acc to vreg[27]
v_accvgpr_read_b32 v[vgprValuC+36], acc14 // copy acc to vreg[28]
v_accvgpr_read_b32 v[vgprValuC+37], acc30 // copy acc to vreg[29]
v_accvgpr_read_b32 v[vgprValuC+38], acc15 // copy acc to vreg[30]
v_accvgpr_read_b32 v[vgprValuC+39], acc31 // copy acc to vreg[31]
v_accvgpr_read_b32 v[vgprValuC+40], acc32 // copy acc to vreg[32]
v_accvgpr_read_b32 v[vgprValuC+41], acc48 // copy acc to vreg[33]
v_accvgpr_read_b32 v[vgprValuC+42], acc33 // copy acc to vreg[34]
v_accvgpr_read_b32 v[vgprValuC+43], acc49 // copy acc to vreg[35]
v_accvgpr_read_b32 v[vgprValuC+44], acc34 // copy acc to vreg[36]
v_accvgpr_read_b32 v[vgprValuC+45], acc50 // copy acc to vreg[37]
v_accvgpr_read_b32 v[vgprValuC+46], acc35 // copy acc to vreg[38]
v_accvgpr_read_b32 v[vgprValuC+47], acc51 // copy acc to vreg[39]
v_accvgpr_read_b32 v[vgprValuC+48], acc36 // copy acc to vreg[40]
v_accvgpr_read_b32 v[vgprValuC+49], acc52 // copy acc to vreg[41]
v_accvgpr_read_b32 v[vgprValuC+50], acc37 // copy acc to vreg[42]
v_accvgpr_read_b32 v[vgprValuC+51], acc53 // copy acc to vreg[43]
v_accvgpr_read_b32 v[vgprValuC+52], acc38 // copy acc to vreg[44]
v_accvgpr_read_b32 v[vgprValuC+53], acc54 // copy acc to vreg[45]
v_accvgpr_read_b32 v[vgprValuC+54], acc39 // copy acc to vreg[46]
v_accvgpr_read_b32 v[vgprValuC+55], acc55 // copy acc to vreg[47]
v_accvgpr_read_b32 v[vgprValuC+56], acc40 // copy acc to vreg[48]
v_accvgpr_read_b32 v[vgprValuC+57], acc56 // copy acc to vreg[49]
v_accvgpr_read_b32 v[vgprValuC+58], acc41 // copy acc to vreg[50]
v_accvgpr_read_b32 v[vgprValuC+59], acc57 // copy acc to vreg[51]
v_accvgpr_read_b32 v[vgprValuC+60], acc42 // copy acc to vreg[52]
v_accvgpr_read_b32 v[vgprValuC+61], acc58 // copy acc to vreg[53]
v_accvgpr_read_b32 v[vgprValuC+62], acc43 // copy acc to vreg[54]
v_accvgpr_read_b32 v[vgprValuC+63], acc59 // copy acc to vreg[55]
v_accvgpr_read_b32 v[vgprValuC+64], acc44 // copy acc to vreg[56]
v_accvgpr_read_b32 v[vgprValuC+65], acc60 // copy acc to vreg[57]
v_accvgpr_read_b32 v[vgprValuC+66], acc45 // copy acc to vreg[58]
v_accvgpr_read_b32 v[vgprValuC+67], acc61 // copy acc to vreg[59]
v_accvgpr_read_b32 v[vgprValuC+68], acc46 // copy acc to vreg[60]
v_accvgpr_read_b32 v[vgprValuC+69], acc62 // copy acc to vreg[61]
v_accvgpr_read_b32 v[vgprValuC+70], acc47 // copy acc to vreg[62]
v_accvgpr_read_b32 v[vgprValuC+71], acc63 // copy acc to vreg[63]
v_accvgpr_read_b32 v[vgprValuC+72], acc64 // copy acc to vreg[64]
v_accvgpr_read_b32 v[vgprValuC+73], acc80 // copy acc to vreg[65]
v_accvgpr_read_b32 v[vgprValuC+74], acc65 // copy acc to vreg[66]
v_accvgpr_read_b32 v[vgprValuC+75], acc81 // copy acc to vreg[67]
v_accvgpr_read_b32 v[vgprValuC+76], acc66 // copy acc to vreg[68]
v_accvgpr_read_b32 v[vgprValuC+77], acc82 // copy acc to vreg[69]
v_accvgpr_read_b32 v[vgprValuC+78], acc67 // copy acc to vreg[70]
v_accvgpr_read_b32 v[vgprValuC+79], acc83 // copy acc to vreg[71]
v_accvgpr_read_b32 v[vgprValuC+80], acc68 // copy acc to vreg[72]
v_accvgpr_read_b32 v[vgprValuC+81], acc84 // copy acc to vreg[73]
v_accvgpr_read_b32 v[vgprValuC+82], acc69 // copy acc to vreg[74]
v_accvgpr_read_b32 v[vgprValuC+83], acc85 // copy acc to vreg[75]
v_accvgpr_read_b32 v[vgprValuC+84], acc70 // copy acc to vreg[76]
v_accvgpr_read_b32 v[vgprValuC+85], acc86 // copy acc to vreg[77]
v_accvgpr_read_b32 v[vgprValuC+86], acc71 // copy acc to vreg[78]
v_accvgpr_read_b32 v[vgprValuC+87], acc87 // copy acc to vreg[79]
v_accvgpr_read_b32 v[vgprValuC+88], acc72 // copy acc to vreg[80]
v_accvgpr_read_b32 v[vgprValuC+89], acc88 // copy acc to vreg[81]
v_accvgpr_read_b32 v[vgprValuC+90], acc73 // copy acc to vreg[82]
v_accvgpr_read_b32 v[vgprValuC+91], acc89 // copy acc to vreg[83]
v_accvgpr_read_b32 v[vgprValuC+92], acc74 // copy acc to vreg[84]
v_accvgpr_read_b32 v[vgprValuC+93], acc90 // copy acc to vreg[85]
v_accvgpr_read_b32 v[vgprValuC+94], acc75 // copy acc to vreg[86]
v_accvgpr_read_b32 v[vgprValuC+95], acc91 // copy acc to vreg[87]
v_accvgpr_read_b32 v[vgprValuC+96], acc76 // copy acc to vreg[88]
v_accvgpr_read_b32 v[vgprValuC+97], acc92 // copy acc to vreg[89]
v_accvgpr_read_b32 v[vgprValuC+98], acc77 // copy acc to vreg[90]
v_accvgpr_read_b32 v[vgprValuC+99], acc93 // copy acc to vreg[91]
v_accvgpr_read_b32 v[vgprValuC+100], acc78 // copy acc to vreg[92]
v_accvgpr_read_b32 v[vgprValuC+101], acc94 // copy acc to vreg[93]
v_accvgpr_read_b32 v[vgprValuC+102], acc79 // copy acc to vreg[94]
v_accvgpr_read_b32 v[vgprValuC+103], acc95 // copy acc to vreg[95]
v_accvgpr_read_b32 v[vgprValuC+104], acc96 // copy acc to vreg[96]
v_accvgpr_read_b32 v[vgprValuC+105], acc112 // copy acc to vreg[97]
v_accvgpr_read_b32 v[vgprValuC+106], acc97 // copy acc to vreg[98]
v_accvgpr_read_b32 v[vgprValuC+107], acc113 // copy acc to vreg[99]
v_accvgpr_read_b32 v[vgprValuC+108], acc98 // copy acc to vreg[100]
v_accvgpr_read_b32 v[vgprValuC+109], acc114 // copy acc to vreg[101]
v_accvgpr_read_b32 v[vgprValuC+110], acc99 // copy acc to vreg[102]
v_accvgpr_read_b32 v[vgprValuC+111], acc115 // copy acc to vreg[103]
v_accvgpr_read_b32 v[vgprValuC+112], acc100 // copy acc to vreg[104]
v_accvgpr_read_b32 v[vgprValuC+113], acc116 // copy acc to vreg[105]
v_accvgpr_read_b32 v[vgprValuC+114], acc101 // copy acc to vreg[106]
v_accvgpr_read_b32 v[vgprValuC+115], acc117 // copy acc to vreg[107]
v_accvgpr_read_b32 v[vgprValuC+116], acc102 // copy acc to vreg[108]
v_accvgpr_read_b32 v[vgprValuC+117], acc118 // copy acc to vreg[109]
v_accvgpr_read_b32 v[vgprValuC+118], acc103 // copy acc to vreg[110]
v_accvgpr_read_b32 v[vgprValuC+119], acc119 // copy acc to vreg[111]
v_accvgpr_read_b32 v[vgprValuC+120], acc104 // copy acc to vreg[112]
v_accvgpr_read_b32 v[vgprValuC+121], acc120 // copy acc to vreg[113]
v_accvgpr_read_b32 v[vgprValuC+122], acc105 // copy acc to vreg[114]
v_accvgpr_read_b32 v[vgprValuC+123], acc121 // copy acc to vreg[115]
v_accvgpr_read_b32 v[vgprValuC+124], acc106 // copy acc to vreg[116]
v_accvgpr_read_b32 v[vgprValuC+125], acc122 // copy acc to vreg[117]
v_accvgpr_read_b32 v[vgprValuC+126], acc107 // copy acc to vreg[118]
v_accvgpr_read_b32 v[vgprValuC+127], acc123 // copy acc to vreg[119]
v_accvgpr_read_b32 v[vgprValuC+128], acc108 // copy acc to vreg[120]
v_accvgpr_read_b32 v[vgprValuC+129], acc124 // copy acc to vreg[121]
v_accvgpr_read_b32 v[vgprValuC+130], acc109 // copy acc to vreg[122]
v_accvgpr_read_b32 v[vgprValuC+131], acc125 // copy acc to vreg[123]
v_accvgpr_read_b32 v[vgprValuC+132], acc110 // copy acc to vreg[124]
v_accvgpr_read_b32 v[vgprValuC+133], acc126 // copy acc to vreg[125]
v_accvgpr_read_b32 v[vgprValuC+134], acc111 // copy acc to vreg[126]
v_accvgpr_read_b32 v[vgprValuC+135], acc127 // copy acc to vreg[127]
v_accvgpr_read_b32 v[vgprValuC+136], acc128 // copy acc to vreg[128]
v_accvgpr_read_b32 v[vgprValuC+137], acc144 // copy acc to vreg[129]
v_accvgpr_read_b32 v[vgprValuC+138], acc129 // copy acc to vreg[130]
v_accvgpr_read_b32 v[vgprValuC+139], acc145 // copy acc to vreg[131]
v_accvgpr_read_b32 v[vgprValuC+140], acc130 // copy acc to vreg[132]
v_accvgpr_read_b32 v[vgprValuC+141], acc146 // copy acc to vreg[133]
v_accvgpr_read_b32 v[vgprValuC+142], acc131 // copy acc to vreg[134]
v_accvgpr_read_b32 v[vgprValuC+143], acc147 // copy acc to vreg[135]
v_accvgpr_read_b32 v[vgprValuC+144], acc132 // copy acc to vreg[136]
v_accvgpr_read_b32 v[vgprValuC+145], acc148 // copy acc to vreg[137]
v_accvgpr_read_b32 v[vgprValuC+146], acc133 // copy acc to vreg[138]
v_accvgpr_read_b32 v[vgprValuC+147], acc149 // copy acc to vreg[139]
v_accvgpr_read_b32 v[vgprValuC+148], acc134 // copy acc to vreg[140]
v_accvgpr_read_b32 v[vgprValuC+149], acc150 // copy acc to vreg[141]
v_accvgpr_read_b32 v[vgprValuC+150], acc135 // copy acc to vreg[142]
v_accvgpr_read_b32 v[vgprValuC+151], acc151 // copy acc to vreg[143]
v_accvgpr_read_b32 v[vgprValuC+152], acc136 // copy acc to vreg[144]
v_accvgpr_read_b32 v[vgprValuC+153], acc152 // copy acc to vreg[145]
v_accvgpr_read_b32 v[vgprValuC+154], acc137 // copy acc to vreg[146]
v_accvgpr_read_b32 v[vgprValuC+155], acc153 // copy acc to vreg[147]
v_accvgpr_read_b32 v[vgprValuC+156], acc138 // copy acc to vreg[148]
v_accvgpr_read_b32 v[vgprValuC+157], acc154 // copy acc to vreg[149]
v_accvgpr_read_b32 v[vgprValuC+158], acc139 // copy acc to vreg[150]
v_accvgpr_read_b32 v[vgprValuC+159], acc155 // copy acc to vreg[151]
v_accvgpr_read_b32 v[vgprValuC+160], acc140 // copy acc to vreg[152]
v_accvgpr_read_b32 v[vgprValuC+161], acc156 // copy acc to vreg[153]
v_accvgpr_read_b32 v[vgprValuC+162], acc141 // copy acc to vreg[154]
v_accvgpr_read_b32 v[vgprValuC+163], acc157 // copy acc to vreg[155]
v_accvgpr_read_b32 v[vgprValuC+164], acc142 // copy acc to vreg[156]
v_accvgpr_read_b32 v[vgprValuC+165], acc158 // copy acc to vreg[157]
v_accvgpr_read_b32 v[vgprValuC+166], acc143 // copy acc to vreg[158]
v_accvgpr_read_b32 v[vgprValuC+167], acc159 // copy acc to vreg[159]
v_accvgpr_read_b32 v[vgprValuC+168], acc160 // copy acc to vreg[160]
v_accvgpr_read_b32 v[vgprValuC+169], acc176 // copy acc to vreg[161]
v_accvgpr_read_b32 v[vgprValuC+170], acc161 // copy acc to vreg[162]
v_accvgpr_read_b32 v[vgprValuC+171], acc177 // copy acc to vreg[163]
v_accvgpr_read_b32 v[vgprValuC+172], acc162 // copy acc to vreg[164]
v_accvgpr_read_b32 v[vgprValuC+173], acc178 // copy acc to vreg[165]
v_accvgpr_read_b32 v[vgprValuC+174], acc163 // copy acc to vreg[166]
v_accvgpr_read_b32 v[vgprValuC+175], acc179 // copy acc to vreg[167]
v_accvgpr_read_b32 v[vgprValuC+176], acc164 // copy acc to vreg[168]
v_accvgpr_read_b32 v[vgprValuC+177], acc180 // copy acc to vreg[169]
v_accvgpr_read_b32 v[vgprValuC+178], acc165 // copy acc to vreg[170]
v_accvgpr_read_b32 v[vgprValuC+179], acc181 // copy acc to vreg[171]
v_accvgpr_read_b32 v[vgprValuC+180], acc166 // copy acc to vreg[172]
v_accvgpr_read_b32 v[vgprValuC+181], acc182 // copy acc to vreg[173]
v_accvgpr_read_b32 v[vgprValuC+182], acc167 // copy acc to vreg[174]
v_accvgpr_read_b32 v[vgprValuC+183], acc183 // copy acc to vreg[175]
v_accvgpr_read_b32 v[vgprValuC+184], acc168 // copy acc to vreg[176]
v_accvgpr_read_b32 v[vgprValuC+185], acc184 // copy acc to vreg[177]
v_accvgpr_read_b32 v[vgprValuC+186], acc169 // copy acc to vreg[178]
v_accvgpr_read_b32 v[vgprValuC+187], acc185 // copy acc to vreg[179]
v_accvgpr_read_b32 v[vgprValuC+188], acc170 // copy acc to vreg[180]
v_accvgpr_read_b32 v[vgprValuC+189], acc186 // copy acc to vreg[181]
v_accvgpr_read_b32 v[vgprValuC+190], acc171 // copy acc to vreg[182]
v_accvgpr_read_b32 v[vgprValuC+191], acc187 // copy acc to vreg[183]
v_accvgpr_read_b32 v[vgprValuC+192], acc172 // copy acc to vreg[184]
v_accvgpr_read_b32 v[vgprValuC+193], acc188 // copy acc to vreg[185]
v_accvgpr_read_b32 v[vgprValuC+194], acc173 // copy acc to vreg[186]
v_accvgpr_read_b32 v[vgprValuC+195], acc189 // copy acc to vreg[187]
v_accvgpr_read_b32 v[vgprValuC+200], acc174 // copy acc to vreg[188]
v_accvgpr_read_b32 v[vgprValuC+201], acc190 // copy acc to vreg[189]
v_accvgpr_read_b32 v[vgprValuC+202], acc175 // copy acc to vreg[190]
v_accvgpr_read_b32 v[vgprValuC+203], acc191 // copy acc to vreg[191]
v_accvgpr_read_b32 v[vgprValuC+204], acc192 // copy acc to vreg[192]
v_accvgpr_read_b32 v[vgprValuC+205], acc208 // copy acc to vreg[193]
v_accvgpr_read_b32 v[vgprValuC+206], acc193 // copy acc to vreg[194]
v_accvgpr_read_b32 v[vgprValuC+207], acc209 // copy acc to vreg[195]
v_accvgpr_read_b32 v[vgprValuC+208], acc194 // copy acc to vreg[196]
v_accvgpr_read_b32 v[vgprValuC+209], acc210 // copy acc to vreg[197]
v_accvgpr_read_b32 v[vgprValuC+210], acc195 // copy acc to vreg[198]
v_accvgpr_read_b32 v[vgprValuC+211], acc211 // copy acc to vreg[199]
v_accvgpr_read_b32 v[vgprValuC+212], acc196 // copy acc to vreg[200]
v_accvgpr_read_b32 v[vgprValuC+213], acc212 // copy acc to vreg[201]
v_accvgpr_read_b32 v[vgprValuC+214], acc197 // copy acc to vreg[202]
v_accvgpr_read_b32 v[vgprValuC+215], acc213 // copy acc to vreg[203]
v_accvgpr_read_b32 v[vgprValuC+216], acc198 // copy acc to vreg[204]
v_accvgpr_read_b32 v[vgprValuC+217], acc214 // copy acc to vreg[205]
v_accvgpr_read_b32 v[vgprValuC+218], acc199 // copy acc to vreg[206]
v_accvgpr_read_b32 v[vgprValuC+219], acc215 // copy acc to vreg[207]
v_accvgpr_read_b32 v[vgprValuC+220], acc200 // copy acc to vreg[208]
v_accvgpr_read_b32 v[vgprValuC+221], acc216 // copy acc to vreg[209]
v_accvgpr_read_b32 v[vgprValuC+222], acc201 // copy acc to vreg[210]
v_accvgpr_read_b32 v[vgprValuC+223], acc217 // copy acc to vreg[211]
v_accvgpr_read_b32 v[vgprValuC+224], acc202 // copy acc to vreg[212]
v_accvgpr_read_b32 v[vgprValuC+225], acc218 // copy acc to vreg[213]
v_accvgpr_read_b32 v[vgprValuC+226], acc203 // copy acc to vreg[214]
v_accvgpr_read_b32 v[vgprValuC+227], acc219 // copy acc to vreg[215]
v_accvgpr_read_b32 v[vgprValuC+228], acc204 // copy acc to vreg[216]
v_accvgpr_read_b32 v[vgprValuC+229], acc220 // copy acc to vreg[217]
v_accvgpr_read_b32 v[vgprValuC+230], acc205 // copy acc to vreg[218]
v_accvgpr_read_b32 v[vgprValuC+231], acc221 // copy acc to vreg[219]
v_accvgpr_read_b32 v[vgprValuC+232], acc206 // copy acc to vreg[220]
v_accvgpr_read_b32 v[vgprValuC+233], acc222 // copy acc to vreg[221]
v_accvgpr_read_b32 v[vgprValuC+234], acc207 // copy acc to vreg[222]
v_accvgpr_read_b32 v[vgprValuC+235], acc223 // copy acc to vreg[223]
v_accvgpr_read_b32 v[vgprValuC+236], acc224 // copy acc to vreg[224]
v_accvgpr_read_b32 v[vgprValuC+237], acc240 // copy acc to vreg[225]
v_accvgpr_read_b32 v[vgprValuC+238], acc225 // copy acc to vreg[226]
v_accvgpr_read_b32 v[vgprValuC+239], acc241 // copy acc to vreg[227]
v_accvgpr_read_b32 v[vgprValuC+240], acc226 // copy acc to vreg[228]
v_accvgpr_read_b32 v[vgprValuC+241], acc242 // copy acc to vreg[229]
v_accvgpr_read_b32 v[vgprValuC+242], acc227 // copy acc to vreg[230]
v_accvgpr_read_b32 v[vgprValuC+243], acc243 // copy acc to vreg[231]
v_accvgpr_read_b32 v[vgprValuC+244], acc228 // copy acc to vreg[232]
v_accvgpr_read_b32 v[vgprValuC+245], acc244 // copy acc to vreg[233]
v_accvgpr_read_b32 v[vgprValuC+246], acc229 // copy acc to vreg[234]
v_accvgpr_read_b32 v[vgprValuC+247], acc245 // copy acc to vreg[235]
v_accvgpr_read_b32 v[vgprValuC+248], acc230 // copy acc to vreg[236]
v_accvgpr_read_b32 v[vgprValuC+249], acc246 // copy acc to vreg[237]
v_accvgpr_read_b32 v[vgprValuC+250], acc231 // copy acc to vreg[238]
v_accvgpr_read_b32 v[vgprValuC+251], acc247 // copy acc to vreg[239]
v_accvgpr_read_b32 v[vgprValuC+252], acc232 // copy acc to vreg[240]
v_accvgpr_read_b32 v[vgprValuC+253], acc248 // copy acc to vreg[241]
v_accvgpr_read_b32 v[vgprValuC+254], acc233 // copy acc to vreg[242]
v_accvgpr_read_b32 v[vgprValuC+255], acc249 // copy acc to vreg[243]
s_nop 1                                            // 2 wait states required before reading vgpr

/* apply mask, calc new C and issue writes */
_buffer_store_b128 v[8:11], v6, s[sgprSrdD:sgprSrdD+3], 0, offen, offset:0 // store D
_buffer_store_b128 v[12:15], v6, s[sgprSrdD:sgprSrdD+3], 0, offen, offset:16 // store D
_buffer_store_b128 v[16:19], v6, s[sgprSrdD:sgprSrdD+3], 0, offen, offset:64 // store D
_buffer_store_b128 v[20:23], v6, s[sgprSrdD:sgprSrdD+3], 0, offen, offset:80 // store D
_buffer_store_b128 v[24:27], v6, s[sgprSrdD:sgprSrdD+3], 0, offen, offset:128 // store D
_buffer_store_b128 v[28:31], v6, s[sgprSrdD:sgprSrdD+3], 0, offen, offset:144 // store D
_buffer_store_b128 v[32:35], v6, s[sgprSrdD:sgprSrdD+3], 0, offen, offset:192 // store D
_buffer_store_b128 v[36:39], v6, s[sgprSrdD:sgprSrdD+3], 0, offen, offset:208 // store D
_buffer_store_b128 v[40:43], v6, s[sgprSrdD:sgprSrdD+3], 0, offen, offset:512 // store D
_buffer_store_b128 v[44:47], v6, s[sgprSrdD:sgprSrdD+3], 0, offen, offset:528 // store D
_buffer_store_b128 v[48:51], v6, s[sgprSrdD:sgprSrdD+3], 0, offen, offset:576 // store D
_buffer_store_b128 v[52:55], v6, s[sgprSrdD:sgprSrdD+3], 0, offen, offset:592 // store D
_buffer_store_b128 v[56:59], v6, s[sgprSrdD:sgprSrdD+3], 0, offen, offset:640 // store D
_buffer_store_b128 v[60:63], v6, s[sgprSrdD:sgprSrdD+3], 0, offen, offset:656 // store D
_buffer_store_b128 v[64:67], v6, s[sgprSrdD:sgprSrdD+3], 0, offen, offset:704 // store D
_buffer_store_b128 v[68:71], v6, s[sgprSrdD:sgprSrdD+3], 0, offen, offset:720 // store D
s_mul_i32 s32, s[sgprStrideD1J], 256               // scale StrideD *= numRows(64) * bpe
s_add_u32  s[sgprSrdD+0], s[sgprSrdD+0], s32       // incToNextRow: gra SRD += inc(lower)
s_addc_u32  s[sgprSrdD+1], s[sgprSrdD+1], 0        // incToNextRow: gra SRD += inc(upper)
_buffer_store_b128 v[72:75], v6, s[sgprSrdD:sgprSrdD+3], 0, offen, offset:0 // store D
_buffer_store_b128 v[76:79], v6, s[sgprSrdD:sgprSrdD+3], 0, offen, offset:16 // store D
_buffer_store_b128 v[80:83], v6, s[sgprSrdD:sgprSrdD+3], 0, offen, offset:64 // store D
_buffer_store_b128 v[84:87], v6, s[sgprSrdD:sgprSrdD+3], 0, offen, offset:80 // store D
_buffer_store_b128 v[88:91], v6, s[sgprSrdD:sgprSrdD+3], 0, offen, offset:128 // store D
_buffer_store_b128 v[92:95], v6, s[sgprSrdD:sgprSrdD+3], 0, offen, offset:144 // store D
_buffer_store_b128 v[96:99], v6, s[sgprSrdD:sgprSrdD+3], 0, offen, offset:192 // store D
_buffer_store_b128 v[100:103], v6, s[sgprSrdD:sgprSrdD+3], 0, offen, offset:208 // store D
_buffer_store_b128 v[104:107], v6, s[sgprSrdD:sgprSrdD+3], 0, offen, offset:512 // store D
_buffer_store_b128 v[108:111], v6, s[sgprSrdD:sgprSrdD+3], 0, offen, offset:528 // store D
_buffer_store_b128 v[112:115], v6, s[sgprSrdD:sgprSrdD+3], 0, offen, offset:576 // store D
_buffer_store_b128 v[116:119], v6, s[sgprSrdD:sgprSrdD+3], 0, offen, offset:592 // store D
_buffer_store_b128 v[120:123], v6, s[sgprSrdD:sgprSrdD+3], 0, offen, offset:640 // store D
_buffer_store_b128 v[124:127], v6, s[sgprSrdD:sgprSrdD+3], 0, offen, offset:656 // store D
_buffer_store_b128 v[128:131], v6, s[sgprSrdD:sgprSrdD+3], 0, offen, offset:704 // store D
_buffer_store_b128 v[132:135], v6, s[sgprSrdD:sgprSrdD+3], 0, offen, offset:720 // store D
s_mul_i32 s32, s[sgprStrideD1J], 256               // scale StrideD *= numRows(64) * bpe
s_add_u32  s[sgprSrdD+0], s[sgprSrdD+0], s32       // incToNextRow: gra SRD += inc(lower)
s_addc_u32  s[sgprSrdD+1], s[sgprSrdD+1], 0        // incToNextRow: gra SRD += inc(upper)
	;; [unrolled: 19-line block ×3, first 2 shown]
_buffer_store_b128 v[204:207], v6, s[sgprSrdD:sgprSrdD+3], 0, offen, offset:0 // store D
_buffer_store_b128 v[208:211], v6, s[sgprSrdD:sgprSrdD+3], 0, offen, offset:16 // store D
	;; [unrolled: 1-line block ×13, first 2 shown]
s_nop 0                                            // 1 wait state required when next inst writes vgprs held by previous dwordx4 store inst
/* optSingleColVgpr=1 optSharedColVgpr=0 optSGPRUsage=BufferLoad_Mask optSrdIncForRow=1 */

/******************************************/
/* Global Write Batch #1 (d1,d0,vc1,vc0) = */
/*    (3,6,0,4:vw4); (3,7,0,0:vw4); (3,7,0,4:vw4) */
/******************************************/

/* calc coords, apply mask, and issue loads (if necessary) */
/* (d1,vc1,d0,vc0)=(3,0,6,4) */
/* (d1,vc1,d0,vc0)=(3,0,7,0) */
	;; [unrolled: 1-line block ×3, first 2 shown]
v_accvgpr_read_b32 v[vgprValuC+8], acc234 // copy acc to vreg[244]
v_accvgpr_read_b32 v[vgprValuC+9], acc250 // copy acc to vreg[245]
v_accvgpr_read_b32 v[vgprValuC+10], acc235 // copy acc to vreg[246]
v_accvgpr_read_b32 v[vgprValuC+11], acc251 // copy acc to vreg[247]
v_accvgpr_read_b32 v[vgprValuC+12], acc236 // copy acc to vreg[248]
v_accvgpr_read_b32 v[vgprValuC+13], acc252 // copy acc to vreg[249]
v_accvgpr_read_b32 v[vgprValuC+14], acc237 // copy acc to vreg[250]
v_accvgpr_read_b32 v[vgprValuC+15], acc253 // copy acc to vreg[251]
v_accvgpr_read_b32 v[vgprValuC+16], acc238 // copy acc to vreg[252]
v_accvgpr_read_b32 v[vgprValuC+17], acc254 // copy acc to vreg[253]
v_accvgpr_read_b32 v[vgprValuC+18], acc239 // copy acc to vreg[254]
v_accvgpr_read_b32 v[vgprValuC+19], acc255 // copy acc to vreg[255]
s_nop 1                                            // 2 wait states required before reading vgpr

/* apply mask, calc new C and issue writes */
_buffer_store_b128 v[8:11], v6, s[sgprSrdD:sgprSrdD+3], 0, offen, offset:656 // store D
_buffer_store_b128 v[12:15], v6, s[sgprSrdD:sgprSrdD+3], 0, offen, offset:704 // store D
	;; [unrolled: 1-line block ×3, first 2 shown]
s_nop 0                                            // 1 wait state required when next inst writes vgprs held by previous dwordx4 store inst
s_branch label_GW_End_23                           // jump to end
label_GW_End_23:

s_endpgm                                           // Kernel End
OptNLL_End_17:


/******************************************/
/* Ord. NoLoadLoop - Begin                                      */
/******************************************/


	;; [unrolled: 1-line block ×4, first 2 shown]
/* iter 0 (last unrolled loop) */

/*  grEndMfmaIndex:0, lwStartMfmaIndex:252, lwEndMfmaIndex:252  */
/*  numMfmaForLR:2, barrierMfmaIndex:253, LocalWritePerMfma:0.070 */
/*  mfmaIndex:0  */
s_waitcnt lgkmcnt(0)                               // lgkmcnt=0 vmcnt=-1wait for prior local read local write old=0, new=0 newLW=0 newLR=0
v_mfma_f32_32x32x2_f32 a[0+0:15+0], v[vgprValuA_X0_I0+0+0+0], v[vgprValuB_X0_I0+0+0+0], a[0:15]
/*  mfmaIndex:1  */
_ds_load_b32 v[vgprValuA_X1_I0+0], v[vgprLocalReadAddrA] offset:2048 // L -> Reg lro=512 swapByteOffset=0 ti=128 vIdx=0 rIdx=0 oIdx=0 buffer=1 iui=0
_ds_load_b32 v[vgprValuB_X1_I0+0], v[vgprLocalReadAddrB] offset:2048 // L -> Reg lro=512 swapByteOffset=0 ti=64 vIdx=0 rIdx=0 oIdx=0 buffer=1 iui=0
_ds_load_b32 v[vgprValuA_X1_I0+1], v[vgprLocalReadAddrA] offset:2052 // L -> Reg lro=512 swapByteOffset=0 ti=128 vIdx=0 rIdx=0 oIdx=0 buffer=1 iui=0
_ds_load_b32 v[vgprValuA_X1_I0+2], v[vgprLocalReadAddrA] offset:2560 // L -> Reg lro=512 swapByteOffset=0 ti=128 vIdx=1 rIdx=0 oIdx=0 buffer=1 iui=0
	;; [unrolled: 1-line block ×3, first 2 shown]
_ds_load_b32 v[vgprValuB_X1_I0+1], v[vgprLocalReadAddrB] offset:2304 // L -> Reg lro=512 swapByteOffset=0 ti=64 vIdx=1 rIdx=0 oIdx=0 buffer=1 iui=0
v_mfma_f32_32x32x2_f32 a[16+0:31+0], v[vgprValuA_X0_I0+1+0+0], v[vgprValuB_X0_I0+0+0+0], a[16:31]
/*  mfmaIndex:2  */
_ds_load_b32 v[vgprValuB_X1_I0+2], v[vgprLocalReadAddrB] offset:2560 // L -> Reg lro=512 swapByteOffset=0 ti=64 vIdx=2 rIdx=0 oIdx=0 buffer=1 iui=0
_ds_load_b32 v[vgprValuB_X1_I0+3], v[vgprLocalReadAddrB] offset:2816 // L -> Reg lro=512 swapByteOffset=0 ti=64 vIdx=3 rIdx=0 oIdx=0 buffer=1 iui=0
/* localReadsVacancy: latencyLeft 9 */
_ds_load_b32 v[vgprValuA_X2_I0+0], v[vgprLocalReadAddrA] offset:4096 // L -> Reg lro=1024 swapByteOffset=0 ti=128 vIdx=0 rIdx=0 oIdx=0 buffer=2 iui=0
_ds_load_b32 v[vgprValuB_X2_I0+0], v[vgprLocalReadAddrB] offset:4096 // L -> Reg lro=1024 swapByteOffset=0 ti=64 vIdx=0 rIdx=0 oIdx=0 buffer=2 iui=0
_ds_load_b32 v[vgprValuA_X2_I0+1], v[vgprLocalReadAddrA] offset:4100 // L -> Reg lro=1024 swapByteOffset=0 ti=128 vIdx=0 rIdx=0 oIdx=0 buffer=2 iui=0
_ds_load_b32 v[vgprValuA_X2_I0+2], v[vgprLocalReadAddrA] offset:4608 // L -> Reg lro=1024 swapByteOffset=0 ti=128 vIdx=1 rIdx=0 oIdx=0 buffer=2 iui=0
v_mfma_f32_32x32x2_f32 a[32+0:47+0], v[vgprValuA_X0_I0+2+0+0], v[vgprValuB_X0_I0+0+0+0], a[32:47]
/*  mfmaIndex:3  */
/* localReadsVacancy: latencyLeft 13 */
_ds_load_b32 v[vgprValuA_X2_I0+3], v[vgprLocalReadAddrA] offset:4612 // L -> Reg lro=1024 swapByteOffset=0 ti=128 vIdx=1 rIdx=0 oIdx=0 buffer=2 iui=0
_ds_load_b32 v[vgprValuB_X2_I0+1], v[vgprLocalReadAddrB] offset:4352 // L -> Reg lro=1024 swapByteOffset=0 ti=64 vIdx=1 rIdx=0 oIdx=0 buffer=2 iui=0
_ds_load_b32 v[vgprValuB_X2_I0+2], v[vgprLocalReadAddrB] offset:4608 // L -> Reg lro=1024 swapByteOffset=0 ti=64 vIdx=2 rIdx=0 oIdx=0 buffer=2 iui=0
	;; [unrolled: 1-line block ×3, first 2 shown]
_ds_load_b32 v[vgprValuA_X3_I0+0], v[vgprLocalReadAddrA] offset:6144 // L -> Reg lro=1536 swapByteOffset=0 ti=128 vIdx=0 rIdx=0 oIdx=0 buffer=3 iui=0
_ds_load_b32 v[vgprValuB_X3_I0+0], v[vgprLocalReadAddrB] offset:6144 // L -> Reg lro=1536 swapByteOffset=0 ti=64 vIdx=0 rIdx=0 oIdx=0 buffer=3 iui=0
v_mfma_f32_32x32x2_f32 a[48+0:63+0], v[vgprValuA_X0_I0+3+0+0], v[vgprValuB_X0_I0+0+0+0], a[48:63]
/*  mfmaIndex:4  */
/* localReadsVacancy: latencyLeft 13 */
_ds_load_b32 v[vgprValuA_X3_I0+1], v[vgprLocalReadAddrA] offset:6148 // L -> Reg lro=1536 swapByteOffset=0 ti=128 vIdx=0 rIdx=0 oIdx=0 buffer=3 iui=0
_ds_load_b32 v[vgprValuA_X3_I0+2], v[vgprLocalReadAddrA] offset:6656 // L -> Reg lro=1536 swapByteOffset=0 ti=128 vIdx=1 rIdx=0 oIdx=0 buffer=3 iui=0
	;; [unrolled: 1-line block ×3, first 2 shown]
_ds_load_b32 v[vgprValuB_X3_I0+1], v[vgprLocalReadAddrB] offset:6400 // L -> Reg lro=1536 swapByteOffset=0 ti=64 vIdx=1 rIdx=0 oIdx=0 buffer=3 iui=0
_ds_load_b32 v[vgprValuB_X3_I0+2], v[vgprLocalReadAddrB] offset:6656 // L -> Reg lro=1536 swapByteOffset=0 ti=64 vIdx=2 rIdx=0 oIdx=0 buffer=3 iui=0
	;; [unrolled: 1-line block ×3, first 2 shown]
v_mfma_f32_32x32x2_f32 a[112+0:127+0], v[vgprValuA_X0_I0+3+0+0], v[vgprValuB_X0_I0+1+0+0], a[112:127]
/*  mfmaIndex:5  */
/* localReadsVacancy: latencyLeft 13 */
_ds_load_b32 v[vgprValuA_X4_I0+0], v[vgprLocalReadAddrA] offset:8192 // L -> Reg lro=2048 swapByteOffset=0 ti=128 vIdx=0 rIdx=0 oIdx=0 buffer=4 iui=0
_ds_load_b32 v[vgprValuB_X4_I0+0], v[vgprLocalReadAddrB] offset:8192 // L -> Reg lro=2048 swapByteOffset=0 ti=64 vIdx=0 rIdx=0 oIdx=0 buffer=4 iui=0
_ds_load_b32 v[vgprValuA_X4_I0+1], v[vgprLocalReadAddrA] offset:8196 // L -> Reg lro=2048 swapByteOffset=0 ti=128 vIdx=0 rIdx=0 oIdx=0 buffer=4 iui=0
_ds_load_b32 v[vgprValuA_X4_I0+2], v[vgprLocalReadAddrA] offset:8704 // L -> Reg lro=2048 swapByteOffset=0 ti=128 vIdx=1 rIdx=0 oIdx=0 buffer=4 iui=0
	;; [unrolled: 1-line block ×3, first 2 shown]
_ds_load_b32 v[vgprValuB_X4_I0+1], v[vgprLocalReadAddrB] offset:8448 // L -> Reg lro=2048 swapByteOffset=0 ti=64 vIdx=1 rIdx=0 oIdx=0 buffer=4 iui=0
v_mfma_f32_32x32x2_f32 a[96+0:111+0], v[vgprValuA_X0_I0+2+0+0], v[vgprValuB_X0_I0+1+0+0], a[96:111]
/*  mfmaIndex:6  */
/* localReadsVacancy: latencyLeft 13 */
_ds_load_b32 v[vgprValuB_X4_I0+2], v[vgprLocalReadAddrB] offset:8704 // L -> Reg lro=2048 swapByteOffset=0 ti=64 vIdx=2 rIdx=0 oIdx=0 buffer=4 iui=0
_ds_load_b32 v[vgprValuB_X4_I0+3], v[vgprLocalReadAddrB] offset:8960 // L -> Reg lro=2048 swapByteOffset=0 ti=64 vIdx=3 rIdx=0 oIdx=0 buffer=4 iui=0
_ds_load_b32 v[vgprValuA_X5_I0+0], v[vgprLocalReadAddrA] offset:10240 // L -> Reg lro=2560 swapByteOffset=0 ti=128 vIdx=0 rIdx=0 oIdx=0 buffer=5 iui=0
_ds_load_b32 v[vgprValuB_X5_I0+0], v[vgprLocalReadAddrB] offset:10240 // L -> Reg lro=2560 swapByteOffset=0 ti=64 vIdx=0 rIdx=0 oIdx=0 buffer=5 iui=0
_ds_load_b32 v[vgprValuA_X5_I0+1], v[vgprLocalReadAddrA] offset:10244 // L -> Reg lro=2560 swapByteOffset=0 ti=128 vIdx=0 rIdx=0 oIdx=0 buffer=5 iui=0
_ds_load_b32 v[vgprValuA_X5_I0+2], v[vgprLocalReadAddrA] offset:10752 // L -> Reg lro=2560 swapByteOffset=0 ti=128 vIdx=1 rIdx=0 oIdx=0 buffer=5 iui=0
v_mfma_f32_32x32x2_f32 a[80+0:95+0], v[vgprValuA_X0_I0+1+0+0], v[vgprValuB_X0_I0+1+0+0], a[80:95]
/*  mfmaIndex:7  */
/* localReadsVacancy: latencyLeft 13 */
_ds_load_b32 v[vgprValuA_X5_I0+3], v[vgprLocalReadAddrA] offset:10756 // L -> Reg lro=2560 swapByteOffset=0 ti=128 vIdx=1 rIdx=0 oIdx=0 buffer=5 iui=0
_ds_load_b32 v[vgprValuB_X5_I0+1], v[vgprLocalReadAddrB] offset:10496 // L -> Reg lro=2560 swapByteOffset=0 ti=64 vIdx=1 rIdx=0 oIdx=0 buffer=5 iui=0
_ds_load_b32 v[vgprValuB_X5_I0+2], v[vgprLocalReadAddrB] offset:10752 // L -> Reg lro=2560 swapByteOffset=0 ti=64 vIdx=2 rIdx=0 oIdx=0 buffer=5 iui=0
	;; [unrolled: 1-line block ×3, first 2 shown]
_ds_load_b32 v[vgprValuA_X6_I0+0], v[vgprLocalReadAddrA] offset:12288 // L -> Reg lro=3072 swapByteOffset=0 ti=128 vIdx=0 rIdx=0 oIdx=0 buffer=6 iui=0
_ds_load_b32 v[vgprValuB_X6_I0+0], v[vgprLocalReadAddrB] offset:12288 // L -> Reg lro=3072 swapByteOffset=0 ti=64 vIdx=0 rIdx=0 oIdx=0 buffer=6 iui=0
v_mfma_f32_32x32x2_f32 a[64+0:79+0], v[vgprValuA_X0_I0+0+0+0], v[vgprValuB_X0_I0+1+0+0], a[64:79]
/*  mfmaIndex:8  */
/* localReadsVacancy: latencyLeft 13 */
_ds_load_b32 v[vgprValuA_X6_I0+1], v[vgprLocalReadAddrA] offset:12292 // L -> Reg lro=3072 swapByteOffset=0 ti=128 vIdx=0 rIdx=0 oIdx=0 buffer=6 iui=0
_ds_load_b32 v[vgprValuA_X6_I0+2], v[vgprLocalReadAddrA] offset:12800 // L -> Reg lro=3072 swapByteOffset=0 ti=128 vIdx=1 rIdx=0 oIdx=0 buffer=6 iui=0
	;; [unrolled: 1-line block ×3, first 2 shown]
_ds_load_b32 v[vgprValuB_X6_I0+1], v[vgprLocalReadAddrB] offset:12544 // L -> Reg lro=3072 swapByteOffset=0 ti=64 vIdx=1 rIdx=0 oIdx=0 buffer=6 iui=0
_ds_load_b32 v[vgprValuB_X6_I0+2], v[vgprLocalReadAddrB] offset:12800 // L -> Reg lro=3072 swapByteOffset=0 ti=64 vIdx=2 rIdx=0 oIdx=0 buffer=6 iui=0
	;; [unrolled: 1-line block ×3, first 2 shown]
v_mfma_f32_32x32x2_f32 a[128+0:143+0], v[vgprValuA_X0_I0+0+0+0], v[vgprValuB_X0_I0+2+0+0], a[128:143]
/*  mfmaIndex:9  */
/* localReadsVacancy: latencyLeft 13 */
_ds_load_b32 v[vgprValuA_X7_I0+0], v[vgprLocalReadAddrA] offset:14336 // L -> Reg lro=3584 swapByteOffset=0 ti=128 vIdx=0 rIdx=0 oIdx=0 buffer=7 iui=0
_ds_load_b32 v[vgprValuB_X7_I0+0], v[vgprLocalReadAddrB] offset:14336 // L -> Reg lro=3584 swapByteOffset=0 ti=64 vIdx=0 rIdx=0 oIdx=0 buffer=7 iui=0
_ds_load_b32 v[vgprValuA_X7_I0+1], v[vgprLocalReadAddrA] offset:14340 // L -> Reg lro=3584 swapByteOffset=0 ti=128 vIdx=0 rIdx=0 oIdx=0 buffer=7 iui=0
_ds_load_b32 v[vgprValuA_X7_I0+2], v[vgprLocalReadAddrA] offset:14848 // L -> Reg lro=3584 swapByteOffset=0 ti=128 vIdx=1 rIdx=0 oIdx=0 buffer=7 iui=0
	;; [unrolled: 1-line block ×3, first 2 shown]
_ds_load_b32 v[vgprValuB_X7_I0+1], v[vgprLocalReadAddrB] offset:14592 // L -> Reg lro=3584 swapByteOffset=0 ti=64 vIdx=1 rIdx=0 oIdx=0 buffer=7 iui=0
v_mfma_f32_32x32x2_f32 a[144+0:159+0], v[vgprValuA_X0_I0+1+0+0], v[vgprValuB_X0_I0+2+0+0], a[144:159]
/*  mfmaIndex:10  */
/* localReadsVacancy: latencyLeft 13 */
_ds_load_b32 v[vgprValuB_X7_I0+2], v[vgprLocalReadAddrB] offset:14848 // L -> Reg lro=3584 swapByteOffset=0 ti=64 vIdx=2 rIdx=0 oIdx=0 buffer=7 iui=0
_ds_load_b32 v[vgprValuB_X7_I0+3], v[vgprLocalReadAddrB] offset:15104 // L -> Reg lro=3584 swapByteOffset=0 ti=64 vIdx=3 rIdx=0 oIdx=0 buffer=7 iui=0
_ds_load_b32 v[vgprValuA_X8_I0+0], v[vgprLocalReadAddrA] offset:16384 // L -> Reg lro=4096 swapByteOffset=0 ti=128 vIdx=0 rIdx=0 oIdx=0 buffer=8 iui=0
_ds_load_b32 v[vgprValuB_X8_I0+0], v[vgprLocalReadAddrB] offset:16384 // L -> Reg lro=4096 swapByteOffset=0 ti=64 vIdx=0 rIdx=0 oIdx=0 buffer=8 iui=0
_ds_load_b32 v[vgprValuA_X8_I0+1], v[vgprLocalReadAddrA] offset:16388 // L -> Reg lro=4096 swapByteOffset=0 ti=128 vIdx=0 rIdx=0 oIdx=0 buffer=8 iui=0
_ds_load_b32 v[vgprValuA_X8_I0+2], v[vgprLocalReadAddrA] offset:16896 // L -> Reg lro=4096 swapByteOffset=0 ti=128 vIdx=1 rIdx=0 oIdx=0 buffer=8 iui=0
v_mfma_f32_32x32x2_f32 a[160+0:175+0], v[vgprValuA_X0_I0+2+0+0], v[vgprValuB_X0_I0+2+0+0], a[160:175]
/*  mfmaIndex:11  */
/* localReadsVacancy: latencyLeft 13 */
_ds_load_b32 v[vgprValuA_X8_I0+3], v[vgprLocalReadAddrA] offset:16900 // L -> Reg lro=4096 swapByteOffset=0 ti=128 vIdx=1 rIdx=0 oIdx=0 buffer=8 iui=0
_ds_load_b32 v[vgprValuB_X8_I0+1], v[vgprLocalReadAddrB] offset:16640 // L -> Reg lro=4096 swapByteOffset=0 ti=64 vIdx=1 rIdx=0 oIdx=0 buffer=8 iui=0
_ds_load_b32 v[vgprValuB_X8_I0+2], v[vgprLocalReadAddrB] offset:16896 // L -> Reg lro=4096 swapByteOffset=0 ti=64 vIdx=2 rIdx=0 oIdx=0 buffer=8 iui=0
	;; [unrolled: 1-line block ×3, first 2 shown]
_ds_load_b32 v[vgprValuA_X9_I0+0], v[vgprLocalReadAddrA] offset:18432 // L -> Reg lro=4608 swapByteOffset=0 ti=128 vIdx=0 rIdx=0 oIdx=0 buffer=9 iui=0
_ds_load_b32 v[vgprValuB_X9_I0+0], v[vgprLocalReadAddrB] offset:18432 // L -> Reg lro=4608 swapByteOffset=0 ti=64 vIdx=0 rIdx=0 oIdx=0 buffer=9 iui=0
v_mfma_f32_32x32x2_f32 a[176+0:191+0], v[vgprValuA_X0_I0+3+0+0], v[vgprValuB_X0_I0+2+0+0], a[176:191]
/*  mfmaIndex:12  */
/* localReadsVacancy: latencyLeft 13 */
_ds_load_b32 v[vgprValuA_X9_I0+1], v[vgprLocalReadAddrA] offset:18436 // L -> Reg lro=4608 swapByteOffset=0 ti=128 vIdx=0 rIdx=0 oIdx=0 buffer=9 iui=0
_ds_load_b32 v[vgprValuA_X9_I0+2], v[vgprLocalReadAddrA] offset:18944 // L -> Reg lro=4608 swapByteOffset=0 ti=128 vIdx=1 rIdx=0 oIdx=0 buffer=9 iui=0
	;; [unrolled: 1-line block ×3, first 2 shown]
_ds_load_b32 v[vgprValuB_X9_I0+1], v[vgprLocalReadAddrB] offset:18688 // L -> Reg lro=4608 swapByteOffset=0 ti=64 vIdx=1 rIdx=0 oIdx=0 buffer=9 iui=0
_ds_load_b32 v[vgprValuB_X9_I0+2], v[vgprLocalReadAddrB] offset:18944 // L -> Reg lro=4608 swapByteOffset=0 ti=64 vIdx=2 rIdx=0 oIdx=0 buffer=9 iui=0
	;; [unrolled: 1-line block ×3, first 2 shown]
v_mfma_f32_32x32x2_f32 a[240+0:255+0], v[vgprValuA_X0_I0+3+0+0], v[vgprValuB_X0_I0+3+0+0], a[240:255]
/*  mfmaIndex:13  */
/* localReadsVacancy: latencyLeft 13 */
_ds_load_b32 v[vgprValuA_X10_I0+0], v[vgprLocalReadAddrA] offset:20480 // L -> Reg lro=5120 swapByteOffset=0 ti=128 vIdx=0 rIdx=0 oIdx=0 buffer=10 iui=0
_ds_load_b32 v[vgprValuB_X10_I0+0], v[vgprLocalReadAddrB] offset:20480 // L -> Reg lro=5120 swapByteOffset=0 ti=64 vIdx=0 rIdx=0 oIdx=0 buffer=10 iui=0
_ds_load_b32 v[vgprValuA_X10_I0+1], v[vgprLocalReadAddrA] offset:20484 // L -> Reg lro=5120 swapByteOffset=0 ti=128 vIdx=0 rIdx=0 oIdx=0 buffer=10 iui=0
_ds_load_b32 v[vgprValuA_X10_I0+2], v[vgprLocalReadAddrA] offset:20992 // L -> Reg lro=5120 swapByteOffset=0 ti=128 vIdx=1 rIdx=0 oIdx=0 buffer=10 iui=0
	;; [unrolled: 1-line block ×3, first 2 shown]
_ds_load_b32 v[vgprValuB_X10_I0+1], v[vgprLocalReadAddrB] offset:20736 // L -> Reg lro=5120 swapByteOffset=0 ti=64 vIdx=1 rIdx=0 oIdx=0 buffer=10 iui=0
v_mfma_f32_32x32x2_f32 a[224+0:239+0], v[vgprValuA_X0_I0+2+0+0], v[vgprValuB_X0_I0+3+0+0], a[224:239]
/*  mfmaIndex:14  */
/* localReadsVacancy: latencyLeft 13 */
_ds_load_b32 v[vgprValuB_X10_I0+2], v[vgprLocalReadAddrB] offset:20992 // L -> Reg lro=5120 swapByteOffset=0 ti=64 vIdx=2 rIdx=0 oIdx=0 buffer=10 iui=0
_ds_load_b32 v[vgprValuB_X10_I0+3], v[vgprLocalReadAddrB] offset:21248 // L -> Reg lro=5120 swapByteOffset=0 ti=64 vIdx=3 rIdx=0 oIdx=0 buffer=10 iui=0
_ds_load_b32 v[vgprValuA_X11_I0+0], v[vgprLocalReadAddrA] offset:22528 // L -> Reg lro=5632 swapByteOffset=0 ti=128 vIdx=0 rIdx=0 oIdx=0 buffer=11 iui=0
_ds_load_b32 v[vgprValuB_X11_I0+0], v[vgprLocalReadAddrB] offset:22528 // L -> Reg lro=5632 swapByteOffset=0 ti=64 vIdx=0 rIdx=0 oIdx=0 buffer=11 iui=0
_ds_load_b32 v[vgprValuA_X11_I0+1], v[vgprLocalReadAddrA] offset:22532 // L -> Reg lro=5632 swapByteOffset=0 ti=128 vIdx=0 rIdx=0 oIdx=0 buffer=11 iui=0
_ds_load_b32 v[vgprValuA_X11_I0+2], v[vgprLocalReadAddrA] offset:23040 // L -> Reg lro=5632 swapByteOffset=0 ti=128 vIdx=1 rIdx=0 oIdx=0 buffer=11 iui=0
v_mfma_f32_32x32x2_f32 a[208+0:223+0], v[vgprValuA_X0_I0+1+0+0], v[vgprValuB_X0_I0+3+0+0], a[208:223]
/*  mfmaIndex:15  */
/* localReadsVacancy: latencyLeft 13 */
_ds_load_b32 v[vgprValuA_X11_I0+3], v[vgprLocalReadAddrA] offset:23044 // L -> Reg lro=5632 swapByteOffset=0 ti=128 vIdx=1 rIdx=0 oIdx=0 buffer=11 iui=0
_ds_load_b32 v[vgprValuB_X11_I0+1], v[vgprLocalReadAddrB] offset:22784 // L -> Reg lro=5632 swapByteOffset=0 ti=64 vIdx=1 rIdx=0 oIdx=0 buffer=11 iui=0
_ds_load_b32 v[vgprValuB_X11_I0+2], v[vgprLocalReadAddrB] offset:23040 // L -> Reg lro=5632 swapByteOffset=0 ti=64 vIdx=2 rIdx=0 oIdx=0 buffer=11 iui=0
	;; [unrolled: 1-line block ×3, first 2 shown]
_ds_load_b32 v[vgprValuA_X12_I0+0], v[vgprLocalReadAddrA] offset:24576 // L -> Reg lro=6144 swapByteOffset=0 ti=128 vIdx=0 rIdx=0 oIdx=0 buffer=12 iui=0
_ds_load_b32 v[vgprValuB_X12_I0+0], v[vgprLocalReadAddrB] offset:24576 // L -> Reg lro=6144 swapByteOffset=0 ti=64 vIdx=0 rIdx=0 oIdx=0 buffer=12 iui=0
v_mfma_f32_32x32x2_f32 a[192+0:207+0], v[vgprValuA_X0_I0+0+0+0], v[vgprValuB_X0_I0+3+0+0], a[192:207]
/* numPrefetchIter=0 */
/* dataAtIterA=-1 numReadsIterA=1 skipReadsIterA=1 readsPerIterA=4 */
/* dataAtIterB=-1 numReadsIterB=1 skipReadsIterB=1 readsPerIterB=4 */


/* iter 1 (last unrolled loop) */

/*  grEndMfmaIndex:0, lwStartMfmaIndex:252, lwEndMfmaIndex:252  */
/*  numMfmaForLR:2, barrierMfmaIndex:253, LocalWritePerMfma:0.070 */
/*  mfmaIndex:16  */
/* localReadsVacancy: latencyLeft 13 */
_ds_load_b32 v[vgprValuA_X12_I0+1], v[vgprLocalReadAddrA] offset:24580 // L -> Reg lro=6144 swapByteOffset=0 ti=128 vIdx=0 rIdx=0 oIdx=0 buffer=12 iui=0
_ds_load_b32 v[vgprValuA_X12_I0+2], v[vgprLocalReadAddrA] offset:25088 // L -> Reg lro=6144 swapByteOffset=0 ti=128 vIdx=1 rIdx=0 oIdx=0 buffer=12 iui=0
	;; [unrolled: 1-line block ×3, first 2 shown]
_ds_load_b32 v[vgprValuB_X12_I0+1], v[vgprLocalReadAddrB] offset:24832 // L -> Reg lro=6144 swapByteOffset=0 ti=64 vIdx=1 rIdx=0 oIdx=0 buffer=12 iui=0
_ds_load_b32 v[vgprValuB_X12_I0+2], v[vgprLocalReadAddrB] offset:25088 // L -> Reg lro=6144 swapByteOffset=0 ti=64 vIdx=2 rIdx=0 oIdx=0 buffer=12 iui=0
	;; [unrolled: 1-line block ×3, first 2 shown]
s_waitcnt lgkmcnt(15)                              // lgkmcnt=0 vmcnt=-1wait for prior local read local write old=8, new=8 newLW=0 newLR=0
v_mfma_f32_32x32x2_f32 a[0+0:15+0], v[vgprValuA_X1_I0+0+0+0], v[vgprValuB_X1_I0+0+0+0], a[0:15]
/*  mfmaIndex:17  */
/* localReadsVacancy: latencyLeft 13 */
_ds_load_b32 v[vgprValuA_X13_I0+0], v[vgprLocalReadAddrA] offset:26624 // L -> Reg lro=6656 swapByteOffset=0 ti=128 vIdx=0 rIdx=0 oIdx=0 buffer=13 iui=0
_ds_load_b32 v[vgprValuB_X13_I0+0], v[vgprLocalReadAddrB] offset:26624 // L -> Reg lro=6656 swapByteOffset=0 ti=64 vIdx=0 rIdx=0 oIdx=0 buffer=13 iui=0
_ds_load_b32 v[vgprValuA_X13_I0+1], v[vgprLocalReadAddrA] offset:26628 // L -> Reg lro=6656 swapByteOffset=0 ti=128 vIdx=0 rIdx=0 oIdx=0 buffer=13 iui=0
_ds_load_b32 v[vgprValuA_X13_I0+2], v[vgprLocalReadAddrA] offset:27136 // L -> Reg lro=6656 swapByteOffset=0 ti=128 vIdx=1 rIdx=0 oIdx=0 buffer=13 iui=0
	;; [unrolled: 1-line block ×3, first 2 shown]
_ds_load_b32 v[vgprValuB_X13_I0+1], v[vgprLocalReadAddrB] offset:26880 // L -> Reg lro=6656 swapByteOffset=0 ti=64 vIdx=1 rIdx=0 oIdx=0 buffer=13 iui=0
v_mfma_f32_32x32x2_f32 a[16+0:31+0], v[vgprValuA_X1_I0+1+0+0], v[vgprValuB_X1_I0+0+0+0], a[16:31]
/*  mfmaIndex:18  */
/* localReadsVacancy: latencyLeft 13 */
_ds_load_b32 v[vgprValuB_X13_I0+2], v[vgprLocalReadAddrB] offset:27136 // L -> Reg lro=6656 swapByteOffset=0 ti=64 vIdx=2 rIdx=0 oIdx=0 buffer=13 iui=0
_ds_load_b32 v[vgprValuB_X13_I0+3], v[vgprLocalReadAddrB] offset:27392 // L -> Reg lro=6656 swapByteOffset=0 ti=64 vIdx=3 rIdx=0 oIdx=0 buffer=13 iui=0
_ds_load_b32 v[vgprValuA_X14_I0+0], v[vgprLocalReadAddrA] offset:28672 // L -> Reg lro=7168 swapByteOffset=0 ti=128 vIdx=0 rIdx=0 oIdx=0 buffer=14 iui=0
_ds_load_b32 v[vgprValuB_X14_I0+0], v[vgprLocalReadAddrB] offset:28672 // L -> Reg lro=7168 swapByteOffset=0 ti=64 vIdx=0 rIdx=0 oIdx=0 buffer=14 iui=0
_ds_load_b32 v[vgprValuA_X14_I0+1], v[vgprLocalReadAddrA] offset:28676 // L -> Reg lro=7168 swapByteOffset=0 ti=128 vIdx=0 rIdx=0 oIdx=0 buffer=14 iui=0
_ds_load_b32 v[vgprValuA_X14_I0+2], v[vgprLocalReadAddrA] offset:29184 // L -> Reg lro=7168 swapByteOffset=0 ti=128 vIdx=1 rIdx=0 oIdx=0 buffer=14 iui=0
v_mfma_f32_32x32x2_f32 a[32+0:47+0], v[vgprValuA_X1_I0+2+0+0], v[vgprValuB_X1_I0+0+0+0], a[32:47]
/*  mfmaIndex:19  */
/* localReadsVacancy: latencyLeft 13 */
_ds_load_b32 v[vgprValuA_X14_I0+3], v[vgprLocalReadAddrA] offset:29188 // L -> Reg lro=7168 swapByteOffset=0 ti=128 vIdx=1 rIdx=0 oIdx=0 buffer=14 iui=0
_ds_load_b32 v[vgprValuB_X14_I0+1], v[vgprLocalReadAddrB] offset:28928 // L -> Reg lro=7168 swapByteOffset=0 ti=64 vIdx=1 rIdx=0 oIdx=0 buffer=14 iui=0
_ds_load_b32 v[vgprValuB_X14_I0+2], v[vgprLocalReadAddrB] offset:29184 // L -> Reg lro=7168 swapByteOffset=0 ti=64 vIdx=2 rIdx=0 oIdx=0 buffer=14 iui=0
	;; [unrolled: 1-line block ×3, first 2 shown]
_ds_load_b32 v[vgprValuA_X15_I0+0], v[vgprLocalReadAddrA] offset:30720 // L -> Reg lro=7680 swapByteOffset=0 ti=128 vIdx=0 rIdx=0 oIdx=0 buffer=15 iui=0
_ds_load_b32 v[vgprValuB_X15_I0+0], v[vgprLocalReadAddrB] offset:30720 // L -> Reg lro=7680 swapByteOffset=0 ti=64 vIdx=0 rIdx=0 oIdx=0 buffer=15 iui=0
v_mfma_f32_32x32x2_f32 a[48+0:63+0], v[vgprValuA_X1_I0+3+0+0], v[vgprValuB_X1_I0+0+0+0], a[48:63]
/*  mfmaIndex:20  */
/* localReadsVacancy: latencyLeft 13 */
_ds_load_b32 v[vgprValuA_X15_I0+1], v[vgprLocalReadAddrA] offset:30724 // L -> Reg lro=7680 swapByteOffset=0 ti=128 vIdx=0 rIdx=0 oIdx=0 buffer=15 iui=0
_ds_load_b32 v[vgprValuA_X15_I0+2], v[vgprLocalReadAddrA] offset:31232 // L -> Reg lro=7680 swapByteOffset=0 ti=128 vIdx=1 rIdx=0 oIdx=0 buffer=15 iui=0
	;; [unrolled: 1-line block ×3, first 2 shown]
_ds_load_b32 v[vgprValuB_X15_I0+1], v[vgprLocalReadAddrB] offset:30976 // L -> Reg lro=7680 swapByteOffset=0 ti=64 vIdx=1 rIdx=0 oIdx=0 buffer=15 iui=0
_ds_load_b32 v[vgprValuB_X15_I0+2], v[vgprLocalReadAddrB] offset:31232 // L -> Reg lro=7680 swapByteOffset=0 ti=64 vIdx=2 rIdx=0 oIdx=0 buffer=15 iui=0
	;; [unrolled: 1-line block ×3, first 2 shown]
v_mfma_f32_32x32x2_f32 a[112+0:127+0], v[vgprValuA_X1_I0+3+0+0], v[vgprValuB_X1_I0+1+0+0], a[112:127]
/*  mfmaIndex:21  */
/* localReadsVacancy: latencyLeft 13 */
v_mfma_f32_32x32x2_f32 a[96+0:111+0], v[vgprValuA_X1_I0+2+0+0], v[vgprValuB_X1_I0+1+0+0], a[96:111]
/*  mfmaIndex:22  */
/* localReadsVacancy: latencyLeft 13 */
	;; [unrolled: 3-line block ×11, first 2 shown]
v_mfma_f32_32x32x2_f32 a[192+0:207+0], v[vgprValuA_X1_I0+0+0+0], v[vgprValuB_X1_I0+3+0+0], a[192:207]
/* numPrefetchIter=0 */
/* dataAtIterA=0 numReadsIterA=2 skipReadsIterA=1 readsPerIterA=4 */
/* dataAtIterB=0 numReadsIterB=2 skipReadsIterB=1 readsPerIterB=4 */


/* iter 2 (last unrolled loop) */

/*  grEndMfmaIndex:0, lwStartMfmaIndex:252, lwEndMfmaIndex:252  */
/*  numMfmaForLR:2, barrierMfmaIndex:253, LocalWritePerMfma:0.070 */
/*  mfmaIndex:32  */
/* localReadsVacancy: latencyLeft 13 */
s_waitcnt lgkmcnt(15)                              // lgkmcnt=0 vmcnt=-1wait for prior local read local write old=0, new=0 newLW=0 newLR=0
v_mfma_f32_32x32x2_f32 a[0+0:15+0], v[vgprValuA_X2_I0+0+0+0], v[vgprValuB_X2_I0+0+0+0], a[0:15]
/*  mfmaIndex:33  */
/* localReadsVacancy: latencyLeft 13 */
v_mfma_f32_32x32x2_f32 a[16+0:31+0], v[vgprValuA_X2_I0+1+0+0], v[vgprValuB_X2_I0+0+0+0], a[16:31]
/*  mfmaIndex:34  */
/* localReadsVacancy: latencyLeft 13 */
	;; [unrolled: 3-line block ×15, first 2 shown]
v_mfma_f32_32x32x2_f32 a[192+0:207+0], v[vgprValuA_X2_I0+0+0+0], v[vgprValuB_X2_I0+3+0+0], a[192:207]
/* numPrefetchIter=0 */
/* dataAtIterA=1 numReadsIterA=3 skipReadsIterA=1 readsPerIterA=4 */
/* dataAtIterB=1 numReadsIterB=3 skipReadsIterB=1 readsPerIterB=4 */


/* iter 3 (last unrolled loop) */

/*  grEndMfmaIndex:0, lwStartMfmaIndex:252, lwEndMfmaIndex:252  */
/*  numMfmaForLR:2, barrierMfmaIndex:253, LocalWritePerMfma:0.070 */
/*  mfmaIndex:48  */
/* localReadsVacancy: latencyLeft 13 */
s_waitcnt lgkmcnt(15)                              // lgkmcnt=0 vmcnt=-1wait for prior local read local write old=0, new=0 newLW=0 newLR=0
v_mfma_f32_32x32x2_f32 a[0+0:15+0], v[vgprValuA_X3_I0+0+0+0], v[vgprValuB_X3_I0+0+0+0], a[0:15]
/*  mfmaIndex:49  */
/* localReadsVacancy: latencyLeft 13 */
v_mfma_f32_32x32x2_f32 a[16+0:31+0], v[vgprValuA_X3_I0+1+0+0], v[vgprValuB_X3_I0+0+0+0], a[16:31]
/*  mfmaIndex:50  */
/* localReadsVacancy: latencyLeft 13 */
	;; [unrolled: 3-line block ×15, first 2 shown]
v_mfma_f32_32x32x2_f32 a[192+0:207+0], v[vgprValuA_X3_I0+0+0+0], v[vgprValuB_X3_I0+3+0+0], a[192:207]
/* numPrefetchIter=0 */
/* dataAtIterA=2 numReadsIterA=4 skipReadsIterA=1 readsPerIterA=4 */
/* dataAtIterB=2 numReadsIterB=4 skipReadsIterB=1 readsPerIterB=4 */


/* iter 4 (last unrolled loop) */

/*  grEndMfmaIndex:0, lwStartMfmaIndex:252, lwEndMfmaIndex:252  */
/*  numMfmaForLR:2, barrierMfmaIndex:253, LocalWritePerMfma:0.070 */
/*  mfmaIndex:64  */
/* localReadsVacancy: latencyLeft 13 */
s_waitcnt lgkmcnt(15)                              // lgkmcnt=0 vmcnt=-1wait for prior local read local write old=0, new=0 newLW=0 newLR=0
v_mfma_f32_32x32x2_f32 a[0+0:15+0], v[vgprValuA_X4_I0+0+0+0], v[vgprValuB_X4_I0+0+0+0], a[0:15]
/*  mfmaIndex:65  */
/* localReadsVacancy: latencyLeft 13 */
v_mfma_f32_32x32x2_f32 a[16+0:31+0], v[vgprValuA_X4_I0+1+0+0], v[vgprValuB_X4_I0+0+0+0], a[16:31]
/*  mfmaIndex:66  */
/* localReadsVacancy: latencyLeft 13 */
	;; [unrolled: 3-line block ×15, first 2 shown]
v_mfma_f32_32x32x2_f32 a[192+0:207+0], v[vgprValuA_X4_I0+0+0+0], v[vgprValuB_X4_I0+3+0+0], a[192:207]
/* numPrefetchIter=0 */
/* dataAtIterA=3 numReadsIterA=5 skipReadsIterA=1 readsPerIterA=4 */
/* dataAtIterB=3 numReadsIterB=5 skipReadsIterB=1 readsPerIterB=4 */


/* iter 5 (last unrolled loop) */

/*  grEndMfmaIndex:0, lwStartMfmaIndex:252, lwEndMfmaIndex:252  */
/*  numMfmaForLR:2, barrierMfmaIndex:253, LocalWritePerMfma:0.070 */
/*  mfmaIndex:80  */
/* localReadsVacancy: latencyLeft 13 */
s_waitcnt lgkmcnt(15)                              // lgkmcnt=0 vmcnt=-1wait for prior local read local write old=0, new=0 newLW=0 newLR=0
v_mfma_f32_32x32x2_f32 a[0+0:15+0], v[vgprValuA_X5_I0+0+0+0], v[vgprValuB_X5_I0+0+0+0], a[0:15]
/*  mfmaIndex:81  */
/* localReadsVacancy: latencyLeft 13 */
v_mfma_f32_32x32x2_f32 a[16+0:31+0], v[vgprValuA_X5_I0+1+0+0], v[vgprValuB_X5_I0+0+0+0], a[16:31]
/*  mfmaIndex:82  */
/* localReadsVacancy: latencyLeft 13 */
	;; [unrolled: 3-line block ×15, first 2 shown]
v_mfma_f32_32x32x2_f32 a[192+0:207+0], v[vgprValuA_X5_I0+0+0+0], v[vgprValuB_X5_I0+3+0+0], a[192:207]
/* numPrefetchIter=0 */
/* dataAtIterA=4 numReadsIterA=6 skipReadsIterA=1 readsPerIterA=4 */
/* dataAtIterB=4 numReadsIterB=6 skipReadsIterB=1 readsPerIterB=4 */


/* iter 6 (last unrolled loop) */

/*  grEndMfmaIndex:0, lwStartMfmaIndex:252, lwEndMfmaIndex:252  */
/*  numMfmaForLR:2, barrierMfmaIndex:253, LocalWritePerMfma:0.070 */
/*  mfmaIndex:96  */
/* localReadsVacancy: latencyLeft 13 */
s_waitcnt lgkmcnt(15)                              // lgkmcnt=0 vmcnt=-1wait for prior local read local write old=0, new=0 newLW=0 newLR=0
v_mfma_f32_32x32x2_f32 a[0+0:15+0], v[vgprValuA_X6_I0+0+0+0], v[vgprValuB_X6_I0+0+0+0], a[0:15]
/*  mfmaIndex:97  */
/* localReadsVacancy: latencyLeft 13 */
v_mfma_f32_32x32x2_f32 a[16+0:31+0], v[vgprValuA_X6_I0+1+0+0], v[vgprValuB_X6_I0+0+0+0], a[16:31]
/*  mfmaIndex:98  */
/* localReadsVacancy: latencyLeft 13 */
	;; [unrolled: 3-line block ×15, first 2 shown]
v_mfma_f32_32x32x2_f32 a[192+0:207+0], v[vgprValuA_X6_I0+0+0+0], v[vgprValuB_X6_I0+3+0+0], a[192:207]
/* numPrefetchIter=0 */
/* dataAtIterA=5 numReadsIterA=7 skipReadsIterA=1 readsPerIterA=4 */
/* dataAtIterB=5 numReadsIterB=7 skipReadsIterB=1 readsPerIterB=4 */


/* iter 7 (last unrolled loop) */

/*  grEndMfmaIndex:0, lwStartMfmaIndex:252, lwEndMfmaIndex:252  */
/*  numMfmaForLR:2, barrierMfmaIndex:253, LocalWritePerMfma:0.070 */
/*  mfmaIndex:112  */
/* localReadsVacancy: latencyLeft 13 */
s_waitcnt lgkmcnt(15)                              // lgkmcnt=0 vmcnt=-1wait for prior local read local write old=0, new=0 newLW=0 newLR=0
v_mfma_f32_32x32x2_f32 a[0+0:15+0], v[vgprValuA_X7_I0+0+0+0], v[vgprValuB_X7_I0+0+0+0], a[0:15]
/*  mfmaIndex:113  */
/* localReadsVacancy: latencyLeft 13 */
v_mfma_f32_32x32x2_f32 a[16+0:31+0], v[vgprValuA_X7_I0+1+0+0], v[vgprValuB_X7_I0+0+0+0], a[16:31]
/*  mfmaIndex:114  */
/* localReadsVacancy: latencyLeft 13 */
	;; [unrolled: 3-line block ×15, first 2 shown]
v_mfma_f32_32x32x2_f32 a[192+0:207+0], v[vgprValuA_X7_I0+0+0+0], v[vgprValuB_X7_I0+3+0+0], a[192:207]
/* numPrefetchIter=0 */
/* dataAtIterA=6 numReadsIterA=8 skipReadsIterA=1 readsPerIterA=4 */
/* dataAtIterB=6 numReadsIterB=8 skipReadsIterB=1 readsPerIterB=4 */


/* iter 8 (last unrolled loop) */

/*  grEndMfmaIndex:0, lwStartMfmaIndex:252, lwEndMfmaIndex:252  */
/*  numMfmaForLR:2, barrierMfmaIndex:253, LocalWritePerMfma:0.070 */
/*  mfmaIndex:128  */
/* localReadsVacancy: latencyLeft 13 */
s_waitcnt lgkmcnt(15)                              // lgkmcnt=0 vmcnt=-1wait for prior local read local write old=0, new=0 newLW=0 newLR=0
v_mfma_f32_32x32x2_f32 a[0+0:15+0], v[vgprValuA_X8_I0+0+0+0], v[vgprValuB_X8_I0+0+0+0], a[0:15]
/*  mfmaIndex:129  */
/* localReadsVacancy: latencyLeft 13 */
v_mfma_f32_32x32x2_f32 a[16+0:31+0], v[vgprValuA_X8_I0+1+0+0], v[vgprValuB_X8_I0+0+0+0], a[16:31]
/*  mfmaIndex:130  */
/* localReadsVacancy: latencyLeft 13 */
	;; [unrolled: 3-line block ×15, first 2 shown]
v_mfma_f32_32x32x2_f32 a[192+0:207+0], v[vgprValuA_X8_I0+0+0+0], v[vgprValuB_X8_I0+3+0+0], a[192:207]
/* numPrefetchIter=0 */
/* dataAtIterA=7 numReadsIterA=9 skipReadsIterA=1 readsPerIterA=4 */
/* dataAtIterB=7 numReadsIterB=9 skipReadsIterB=1 readsPerIterB=4 */


/* iter 9 (last unrolled loop) */

/*  grEndMfmaIndex:0, lwStartMfmaIndex:252, lwEndMfmaIndex:252  */
/*  numMfmaForLR:2, barrierMfmaIndex:253, LocalWritePerMfma:0.070 */
/*  mfmaIndex:144  */
/* localReadsVacancy: latencyLeft 13 */
s_waitcnt lgkmcnt(15)                              // lgkmcnt=0 vmcnt=-1wait for prior local read local write old=0, new=0 newLW=0 newLR=0
v_mfma_f32_32x32x2_f32 a[0+0:15+0], v[vgprValuA_X9_I0+0+0+0], v[vgprValuB_X9_I0+0+0+0], a[0:15]
/*  mfmaIndex:145  */
/* localReadsVacancy: latencyLeft 13 */
v_mfma_f32_32x32x2_f32 a[16+0:31+0], v[vgprValuA_X9_I0+1+0+0], v[vgprValuB_X9_I0+0+0+0], a[16:31]
/*  mfmaIndex:146  */
/* localReadsVacancy: latencyLeft 13 */
	;; [unrolled: 3-line block ×15, first 2 shown]
v_mfma_f32_32x32x2_f32 a[192+0:207+0], v[vgprValuA_X9_I0+0+0+0], v[vgprValuB_X9_I0+3+0+0], a[192:207]
/* numPrefetchIter=0 */
/* dataAtIterA=8 numReadsIterA=10 skipReadsIterA=1 readsPerIterA=4 */
/* dataAtIterB=8 numReadsIterB=10 skipReadsIterB=1 readsPerIterB=4 */


/* iter 10 (last unrolled loop) */

/*  grEndMfmaIndex:0, lwStartMfmaIndex:252, lwEndMfmaIndex:252  */
/*  numMfmaForLR:2, barrierMfmaIndex:253, LocalWritePerMfma:0.070 */
/*  mfmaIndex:160  */
/* localReadsVacancy: latencyLeft 13 */
s_waitcnt lgkmcnt(15)                              // lgkmcnt=0 vmcnt=-1wait for prior local read local write old=0, new=0 newLW=0 newLR=0
v_mfma_f32_32x32x2_f32 a[0+0:15+0], v[vgprValuA_X10_I0+0+0+0], v[vgprValuB_X10_I0+0+0+0], a[0:15]
/*  mfmaIndex:161  */
/* localReadsVacancy: latencyLeft 13 */
v_mfma_f32_32x32x2_f32 a[16+0:31+0], v[vgprValuA_X10_I0+1+0+0], v[vgprValuB_X10_I0+0+0+0], a[16:31]
/*  mfmaIndex:162  */
/* localReadsVacancy: latencyLeft 13 */
v_mfma_f32_32x32x2_f32 a[32+0:47+0], v[vgprValuA_X10_I0+2+0+0], v[vgprValuB_X10_I0+0+0+0], a[32:47]
/*  mfmaIndex:163  */
/* localReadsVacancy: latencyLeft 13 */
v_mfma_f32_32x32x2_f32 a[48+0:63+0], v[vgprValuA_X10_I0+3+0+0], v[vgprValuB_X10_I0+0+0+0], a[48:63]
/*  mfmaIndex:164  */
/* localReadsVacancy: latencyLeft 13 */
v_mfma_f32_32x32x2_f32 a[112+0:127+0], v[vgprValuA_X10_I0+3+0+0], v[vgprValuB_X10_I0+1+0+0], a[112:127]
/*  mfmaIndex:165  */
/* localReadsVacancy: latencyLeft 13 */
v_mfma_f32_32x32x2_f32 a[96+0:111+0], v[vgprValuA_X10_I0+2+0+0], v[vgprValuB_X10_I0+1+0+0], a[96:111]
/*  mfmaIndex:166  */
/* localReadsVacancy: latencyLeft 13 */
v_mfma_f32_32x32x2_f32 a[80+0:95+0], v[vgprValuA_X10_I0+1+0+0], v[vgprValuB_X10_I0+1+0+0], a[80:95]
/*  mfmaIndex:167  */
/* localReadsVacancy: latencyLeft 13 */
v_mfma_f32_32x32x2_f32 a[64+0:79+0], v[vgprValuA_X10_I0+0+0+0], v[vgprValuB_X10_I0+1+0+0], a[64:79]
/*  mfmaIndex:168  */
/* localReadsVacancy: latencyLeft 13 */
v_mfma_f32_32x32x2_f32 a[128+0:143+0], v[vgprValuA_X10_I0+0+0+0], v[vgprValuB_X10_I0+2+0+0], a[128:143]
/*  mfmaIndex:169  */
/* localReadsVacancy: latencyLeft 13 */
v_mfma_f32_32x32x2_f32 a[144+0:159+0], v[vgprValuA_X10_I0+1+0+0], v[vgprValuB_X10_I0+2+0+0], a[144:159]
/*  mfmaIndex:170  */
/* localReadsVacancy: latencyLeft 13 */
v_mfma_f32_32x32x2_f32 a[160+0:175+0], v[vgprValuA_X10_I0+2+0+0], v[vgprValuB_X10_I0+2+0+0], a[160:175]
/*  mfmaIndex:171  */
/* localReadsVacancy: latencyLeft 13 */
v_mfma_f32_32x32x2_f32 a[176+0:191+0], v[vgprValuA_X10_I0+3+0+0], v[vgprValuB_X10_I0+2+0+0], a[176:191]
/*  mfmaIndex:172  */
/* localReadsVacancy: latencyLeft 13 */
v_mfma_f32_32x32x2_f32 a[240+0:255+0], v[vgprValuA_X10_I0+3+0+0], v[vgprValuB_X10_I0+3+0+0], a[240:255]
/*  mfmaIndex:173  */
/* localReadsVacancy: latencyLeft 13 */
v_mfma_f32_32x32x2_f32 a[224+0:239+0], v[vgprValuA_X10_I0+2+0+0], v[vgprValuB_X10_I0+3+0+0], a[224:239]
/*  mfmaIndex:174  */
/* localReadsVacancy: latencyLeft 13 */
v_mfma_f32_32x32x2_f32 a[208+0:223+0], v[vgprValuA_X10_I0+1+0+0], v[vgprValuB_X10_I0+3+0+0], a[208:223]
/*  mfmaIndex:175  */
/* localReadsVacancy: latencyLeft 13 */
v_mfma_f32_32x32x2_f32 a[192+0:207+0], v[vgprValuA_X10_I0+0+0+0], v[vgprValuB_X10_I0+3+0+0], a[192:207]
/* numPrefetchIter=0 */
/* dataAtIterA=9 numReadsIterA=11 skipReadsIterA=1 readsPerIterA=4 */
/* dataAtIterB=9 numReadsIterB=11 skipReadsIterB=1 readsPerIterB=4 */


/* iter 11 (last unrolled loop) */

/*  grEndMfmaIndex:0, lwStartMfmaIndex:252, lwEndMfmaIndex:252  */
/*  numMfmaForLR:2, barrierMfmaIndex:253, LocalWritePerMfma:0.070 */
/*  mfmaIndex:176  */
/* localReadsVacancy: latencyLeft 13 */
s_waitcnt lgkmcnt(15)                              // lgkmcnt=0 vmcnt=-1wait for prior local read local write old=6, new=6 newLW=0 newLR=0
v_mfma_f32_32x32x2_f32 a[0+0:15+0], v[vgprValuA_X11_I0+0+0+0], v[vgprValuB_X11_I0+0+0+0], a[0:15]
/*  mfmaIndex:177  */
/* localReadsVacancy: latencyLeft 13 */
v_mfma_f32_32x32x2_f32 a[16+0:31+0], v[vgprValuA_X11_I0+1+0+0], v[vgprValuB_X11_I0+0+0+0], a[16:31]
/*  mfmaIndex:178  */
/* localReadsVacancy: latencyLeft 13 */
	;; [unrolled: 3-line block ×15, first 2 shown]
v_mfma_f32_32x32x2_f32 a[192+0:207+0], v[vgprValuA_X11_I0+0+0+0], v[vgprValuB_X11_I0+3+0+0], a[192:207]
/* numPrefetchIter=0 */
/* dataAtIterA=10 numReadsIterA=12 skipReadsIterA=1 readsPerIterA=4 */
/* dataAtIterB=10 numReadsIterB=12 skipReadsIterB=1 readsPerIterB=4 */


/* iter 12 (last unrolled loop) */

/*  grEndMfmaIndex:0, lwStartMfmaIndex:252, lwEndMfmaIndex:252  */
/*  numMfmaForLR:2, barrierMfmaIndex:253, LocalWritePerMfma:0.070 */
/*  mfmaIndex:192  */
/* localReadsVacancy: latencyLeft 13 */
s_waitcnt lgkmcnt(15)                              // lgkmcnt=0 vmcnt=-1wait for prior local read local write old=8, new=8 newLW=0 newLR=0
v_mfma_f32_32x32x2_f32 a[0+0:15+0], v[vgprValuA_X12_I0+0+0+0], v[vgprValuB_X12_I0+0+0+0], a[0:15]
/*  mfmaIndex:193  */
/* localReadsVacancy: latencyLeft 13 */
v_mfma_f32_32x32x2_f32 a[16+0:31+0], v[vgprValuA_X12_I0+1+0+0], v[vgprValuB_X12_I0+0+0+0], a[16:31]
/*  mfmaIndex:194  */
/* localReadsVacancy: latencyLeft 13 */
	;; [unrolled: 3-line block ×15, first 2 shown]
v_mfma_f32_32x32x2_f32 a[192+0:207+0], v[vgprValuA_X12_I0+0+0+0], v[vgprValuB_X12_I0+3+0+0], a[192:207]
/* numPrefetchIter=0 */
/* dataAtIterA=11 numReadsIterA=13 skipReadsIterA=1 readsPerIterA=4 */
/* dataAtIterB=11 numReadsIterB=13 skipReadsIterB=1 readsPerIterB=4 */


/* iter 13 (last unrolled loop) */

/*  grEndMfmaIndex:0, lwStartMfmaIndex:252, lwEndMfmaIndex:252  */
/*  numMfmaForLR:2, barrierMfmaIndex:253, LocalWritePerMfma:0.070 */
/*  mfmaIndex:208  */
/* localReadsVacancy: latencyLeft 13 */
s_waitcnt lgkmcnt(15)                              // lgkmcnt=0 vmcnt=-1wait for prior local read local write old=8, new=8 newLW=0 newLR=0
v_mfma_f32_32x32x2_f32 a[0+0:15+0], v[vgprValuA_X13_I0+0+0+0], v[vgprValuB_X13_I0+0+0+0], a[0:15]
/*  mfmaIndex:209  */
/* localReadsVacancy: latencyLeft 13 */
v_mfma_f32_32x32x2_f32 a[16+0:31+0], v[vgprValuA_X13_I0+1+0+0], v[vgprValuB_X13_I0+0+0+0], a[16:31]
/*  mfmaIndex:210  */
/* localReadsVacancy: latencyLeft 13 */
	;; [unrolled: 3-line block ×15, first 2 shown]
v_mfma_f32_32x32x2_f32 a[192+0:207+0], v[vgprValuA_X13_I0+0+0+0], v[vgprValuB_X13_I0+3+0+0], a[192:207]
/* numPrefetchIter=0 */
/* dataAtIterA=12 numReadsIterA=14 skipReadsIterA=1 readsPerIterA=4 */
/* dataAtIterB=12 numReadsIterB=14 skipReadsIterB=1 readsPerIterB=4 */


/* iter 14 (last unrolled loop) */

/*  grEndMfmaIndex:0, lwStartMfmaIndex:252, lwEndMfmaIndex:252  */
/*  numMfmaForLR:2, barrierMfmaIndex:253, LocalWritePerMfma:0.070 */
/*  mfmaIndex:224  */
/* localReadsVacancy: latencyLeft 13 */
s_waitcnt lgkmcnt(8)                               // lgkmcnt=0 vmcnt=-1wait for prior local read local write old=8, new=8 newLW=0 newLR=0
v_mfma_f32_32x32x2_f32 a[0+0:15+0], v[vgprValuA_X14_I0+0+0+0], v[vgprValuB_X14_I0+0+0+0], a[0:15]
/*  mfmaIndex:225  */
/* localReadsVacancy: latencyLeft 13 */
v_mfma_f32_32x32x2_f32 a[16+0:31+0], v[vgprValuA_X14_I0+1+0+0], v[vgprValuB_X14_I0+0+0+0], a[16:31]
/*  mfmaIndex:226  */
/* localReadsVacancy: latencyLeft 13 */
v_mfma_f32_32x32x2_f32 a[32+0:47+0], v[vgprValuA_X14_I0+2+0+0], v[vgprValuB_X14_I0+0+0+0], a[32:47]
/*  mfmaIndex:227  */
/* localReadsVacancy: latencyLeft 13 */
v_mfma_f32_32x32x2_f32 a[48+0:63+0], v[vgprValuA_X14_I0+3+0+0], v[vgprValuB_X14_I0+0+0+0], a[48:63]
/*  mfmaIndex:228  */
/* localReadsVacancy: latencyLeft 13 */
v_mfma_f32_32x32x2_f32 a[112+0:127+0], v[vgprValuA_X14_I0+3+0+0], v[vgprValuB_X14_I0+1+0+0], a[112:127]
/*  mfmaIndex:229  */
/* localReadsVacancy: latencyLeft 13 */
v_mfma_f32_32x32x2_f32 a[96+0:111+0], v[vgprValuA_X14_I0+2+0+0], v[vgprValuB_X14_I0+1+0+0], a[96:111]
/*  mfmaIndex:230  */
/* localReadsVacancy: latencyLeft 13 */
v_mfma_f32_32x32x2_f32 a[80+0:95+0], v[vgprValuA_X14_I0+1+0+0], v[vgprValuB_X14_I0+1+0+0], a[80:95]
/*  mfmaIndex:231  */
/* localReadsVacancy: latencyLeft 13 */
v_mfma_f32_32x32x2_f32 a[64+0:79+0], v[vgprValuA_X14_I0+0+0+0], v[vgprValuB_X14_I0+1+0+0], a[64:79]
/*  mfmaIndex:232  */
/* localReadsVacancy: latencyLeft 13 */
v_mfma_f32_32x32x2_f32 a[128+0:143+0], v[vgprValuA_X14_I0+0+0+0], v[vgprValuB_X14_I0+2+0+0], a[128:143]
/*  mfmaIndex:233  */
/* localReadsVacancy: latencyLeft 13 */
v_mfma_f32_32x32x2_f32 a[144+0:159+0], v[vgprValuA_X14_I0+1+0+0], v[vgprValuB_X14_I0+2+0+0], a[144:159]
/*  mfmaIndex:234  */
/* localReadsVacancy: latencyLeft 13 */
v_mfma_f32_32x32x2_f32 a[160+0:175+0], v[vgprValuA_X14_I0+2+0+0], v[vgprValuB_X14_I0+2+0+0], a[160:175]
/*  mfmaIndex:235  */
/* localReadsVacancy: latencyLeft 13 */
v_mfma_f32_32x32x2_f32 a[176+0:191+0], v[vgprValuA_X14_I0+3+0+0], v[vgprValuB_X14_I0+2+0+0], a[176:191]
/*  mfmaIndex:236  */
/* localReadsVacancy: latencyLeft 13 */
v_mfma_f32_32x32x2_f32 a[240+0:255+0], v[vgprValuA_X14_I0+3+0+0], v[vgprValuB_X14_I0+3+0+0], a[240:255]
/*  mfmaIndex:237  */
/* localReadsVacancy: latencyLeft 13 */
v_mfma_f32_32x32x2_f32 a[224+0:239+0], v[vgprValuA_X14_I0+2+0+0], v[vgprValuB_X14_I0+3+0+0], a[224:239]
/*  mfmaIndex:238  */
/* localReadsVacancy: latencyLeft 13 */
v_mfma_f32_32x32x2_f32 a[208+0:223+0], v[vgprValuA_X14_I0+1+0+0], v[vgprValuB_X14_I0+3+0+0], a[208:223]
/*  mfmaIndex:239  */
/* localReadsVacancy: latencyLeft 13 */
v_mfma_f32_32x32x2_f32 a[192+0:207+0], v[vgprValuA_X14_I0+0+0+0], v[vgprValuB_X14_I0+3+0+0], a[192:207]
/* numPrefetchIter=0 */
/* dataAtIterA=13 numReadsIterA=15 skipReadsIterA=1 readsPerIterA=4 */
/* dataAtIterB=13 numReadsIterB=15 skipReadsIterB=1 readsPerIterB=4 */


/* iter 15 (last unrolled loop) */

/*  grEndMfmaIndex:0, lwStartMfmaIndex:252, lwEndMfmaIndex:252  */
/*  numMfmaForLR:2, barrierMfmaIndex:253, LocalWritePerMfma:0.070 */
/*  mfmaIndex:240  */
s_waitcnt lgkmcnt(0)                               // lgkmcnt=0 vmcnt=-1wait for prior local read local write old=0, new=0 newLW=0 newLR=0
v_mfma_f32_32x32x2_f32 a[0+0:15+0], v[vgprValuA_X15_I0+0+0+0], v[vgprValuB_X15_I0+0+0+0], a[0:15]
/*  mfmaIndex:241  */
v_mfma_f32_32x32x2_f32 a[16+0:31+0], v[vgprValuA_X15_I0+1+0+0], v[vgprValuB_X15_I0+0+0+0], a[16:31]
/*  mfmaIndex:242  */
	;; [unrolled: 2-line block ×11, first 2 shown]
/* 1 LDS buffer: read-sync-write */
s_waitcnt lgkmcnt(0)                               // 
s_barrier                                          // 
v_mfma_f32_32x32x2_f32 a[176+0:191+0], v[vgprValuA_X15_I0+3+0+0], v[vgprValuB_X15_I0+2+0+0], a[176:191]
/*  mfmaIndex:252  */
s_setprio 3                                        // store optimization
v_mfma_f32_32x32x2_f32 a[240+0:255+0], v[vgprValuA_X15_I0+3+0+0], v[vgprValuB_X15_I0+3+0+0], a[240:255]
s_setprio 0                                        // store optimization
/*  mfmaIndex:253  */
v_mfma_f32_32x32x2_f32 a[224+0:239+0], v[vgprValuA_X15_I0+2+0+0], v[vgprValuB_X15_I0+3+0+0], a[224:239]
/*  mfmaIndex:254  */
s_setprio 3                                        // store optimization
v_mfma_f32_32x32x2_f32 a[208+0:223+0], v[vgprValuA_X15_I0+1+0+0], v[vgprValuB_X15_I0+3+0+0], a[208:223]
/*  mfmaIndex:255  */
v_mfma_f32_32x32x2_f32 a[192+0:207+0], v[vgprValuA_X15_I0+0+0+0], v[vgprValuB_X15_I0+3+0+0], a[192:207]
/* numPrefetchIter=0 */
/* dataAtIterA=14 numReadsIterA=15 skipReadsIterA=0 readsPerIterA=4 */
/* dataAtIterB=14 numReadsIterB=15 skipReadsIterB=0 readsPerIterB=4 */

PrefetchGlobalLastIterEnd_5:


/******************************************/
/* Tail Loop                              */
/******************************************/


/* local write reset offsets a */


	;; [unrolled: 1-line block ×4, first 2 shown]
/* local write reset offsets b */


	;; [unrolled: 1-line block ×4, first 2 shown]
//numIterL = (((sizeL % LOCAL_DEPTHU) + LOCAL_SPLITU - 1) / LOCAL_SPLITU)
s_and_b32 s[sgprLoopCounterL], 31, s[sgprSizesSum+0] // s[sgprLoopCounterL] = s[sgprSizesSum+0] % 32
s_cmp_eq_u32 s[sgprLoopCounterL], 0x0              // numIterL == 0
s_cbranch_scc1 SkipTailLoopL_8                     // skip to end of tail loop b/c numIter==0
s_mov_b32 s[sgprOrigLoopCounter], 0                // repurpose to count each localRead increment


/* Update M0 for DTLDS */



/* global read a */

/* g2l=0, load component 0 */
_buffer_load_b32 v[vgprG2LA+0+0], v[vgprGlobalReadOffsetA+0], s[sgprSrdA:sgprSrdA+3], 0, offen offset:0 // load one buffer value
/* g2l=0, load component 1 */
_buffer_load_b32 v[vgprG2LA+0+1], v[vgprGlobalReadOffsetA+0], s[sgprSrdA:sgprSrdA+3], 0, offen offset:4 // load one buffer value
	;; [unrolled: 2-line block ×4, first 2 shown]
/* g2l=4, load component 0 */
_buffer_load_b32 v[vgprG2LA+4+0], v[vgprGlobalReadOffsetA+0], s[sgprSrdA:sgprSrdA+3], s[sgprScalarGlobalReadOffsetA+0], offen offset:0 // load one buffer value
/* g2l=4, load component 1 */
_buffer_load_b32 v[vgprG2LA+4+1], v[vgprGlobalReadOffsetA+0], s[sgprSrdA:sgprSrdA+3], s[sgprScalarGlobalReadOffsetA+0], offen offset:4 // load one buffer value
	;; [unrolled: 2-line block ×28, first 2 shown]


/* Update M0 for DTLDS */


	;; [unrolled: 1-line block ×3, first 2 shown]
/* global read b */

/* g2l=0, load component 0 */
_buffer_load_b32 v[vgprG2LB+0+0], v[vgprGlobalReadOffsetB+0], s[sgprSrdB:sgprSrdB+3], 0, offen offset:0 // load one buffer value
/* g2l=0, load component 1 */
_buffer_load_b32 v[vgprG2LB+0+1], v[vgprGlobalReadOffsetB+0], s[sgprSrdB:sgprSrdB+3], 0, offen offset:4 // load one buffer value
	;; [unrolled: 2-line block ×4, first 2 shown]
/* g2l=4, load component 0 */
_buffer_load_b32 v[vgprG2LB+4+0], v[vgprGlobalReadOffsetB+0], s[sgprSrdB:sgprSrdB+3], s[sgprScalarGlobalReadOffsetB+0], offen offset:0 // load one buffer value
/* g2l=4, load component 1 */
_buffer_load_b32 v[vgprG2LB+4+1], v[vgprGlobalReadOffsetB+0], s[sgprSrdB:sgprSrdB+3], s[sgprScalarGlobalReadOffsetB+0], offen offset:4 // load one buffer value
	;; [unrolled: 2-line block ×28, first 2 shown]

s_waitcnt vmcnt(0)                                 // lgkmcnt=-1 vmcnt=02wait for global read

// Skip force waitcnt0
s_barrier //


/* Done global A/B reads */




/* local write a */

_ds_store_b32 v[vgprLocalWriteAddrA], v[vgprG2LA+0] offset:0 // lwoA_0_0_0_0 = (0 + 0*LSCA)*(MT0I+PAD) + (0*LSPA) = 0
_ds_store_b32 v[vgprLocalWriteAddrA], v[vgprG2LA+1] offset:1024 // lwoA_0_1_0_0 = (1 + 0*LSCA)*(MT0I+PAD) + (0*LSPA) = 1024
_ds_store_b32 v[vgprLocalWriteAddrA], v[vgprG2LA+2] offset:2048 // lwoA_0_2_0_0 = (2 + 0*LSCA)*(MT0I+PAD) + (0*LSPA) = 2048
_ds_store_b32 v[vgprLocalWriteAddrA], v[vgprG2LA+3] offset:3072 // lwoA_0_3_0_0 = (3 + 0*LSCA)*(MT0I+PAD) + (0*LSPA) = 3072
_ds_store_b32 v[vgprLocalWriteAddrA], v[vgprG2LA+4] offset:128 // lwoA_0_0_1_0 = (0 + 0*LSCA)*(MT0I+PAD) + (1*LSPA) = 128
_ds_store_b32 v[vgprLocalWriteAddrA], v[vgprG2LA+5] offset:1152 // lwoA_0_1_1_0 = (1 + 0*LSCA)*(MT0I+PAD) + (1*LSPA) = 1152
_ds_store_b32 v[vgprLocalWriteAddrA], v[vgprG2LA+6] offset:2176 // lwoA_0_2_1_0 = (2 + 0*LSCA)*(MT0I+PAD) + (1*LSPA) = 2176
_ds_store_b32 v[vgprLocalWriteAddrA], v[vgprG2LA+7] offset:3200 // lwoA_0_3_1_0 = (3 + 0*LSCA)*(MT0I+PAD) + (1*LSPA) = 3200
_ds_store_b32 v[vgprLocalWriteAddrA], v[vgprG2LA+8] offset:256 // lwoA_0_0_2_0 = (0 + 0*LSCA)*(MT0I+PAD) + (2*LSPA) = 256
_ds_store_b32 v[vgprLocalWriteAddrA], v[vgprG2LA+9] offset:1280 // lwoA_0_1_2_0 = (1 + 0*LSCA)*(MT0I+PAD) + (2*LSPA) = 1280
_ds_store_b32 v[vgprLocalWriteAddrA], v[vgprG2LA+10] offset:2304 // lwoA_0_2_2_0 = (2 + 0*LSCA)*(MT0I+PAD) + (2*LSPA) = 2304
_ds_store_b32 v[vgprLocalWriteAddrA], v[vgprG2LA+11] offset:3328 // lwoA_0_3_2_0 = (3 + 0*LSCA)*(MT0I+PAD) + (2*LSPA) = 3328
_ds_store_b32 v[vgprLocalWriteAddrA], v[vgprG2LA+12] offset:384 // lwoA_0_0_3_0 = (0 + 0*LSCA)*(MT0I+PAD) + (3*LSPA) = 384
_ds_store_b32 v[vgprLocalWriteAddrA], v[vgprG2LA+13] offset:1408 // lwoA_0_1_3_0 = (1 + 0*LSCA)*(MT0I+PAD) + (3*LSPA) = 1408
_ds_store_b32 v[vgprLocalWriteAddrA], v[vgprG2LA+14] offset:2432 // lwoA_0_2_3_0 = (2 + 0*LSCA)*(MT0I+PAD) + (3*LSPA) = 2432
_ds_store_b32 v[vgprLocalWriteAddrA], v[vgprG2LA+15] offset:3456 // lwoA_0_3_3_0 = (3 + 0*LSCA)*(MT0I+PAD) + (3*LSPA) = 3456
_ds_store_b32 v[vgprLocalWriteAddrA], v[vgprG2LA+16] offset:512 // lwoA_0_0_4_0 = (0 + 0*LSCA)*(MT0I+PAD) + (4*LSPA) = 512
_ds_store_b32 v[vgprLocalWriteAddrA], v[vgprG2LA+17] offset:1536 // lwoA_0_1_4_0 = (1 + 0*LSCA)*(MT0I+PAD) + (4*LSPA) = 1536
_ds_store_b32 v[vgprLocalWriteAddrA], v[vgprG2LA+18] offset:2560 // lwoA_0_2_4_0 = (2 + 0*LSCA)*(MT0I+PAD) + (4*LSPA) = 2560
_ds_store_b32 v[vgprLocalWriteAddrA], v[vgprG2LA+19] offset:3584 // lwoA_0_3_4_0 = (3 + 0*LSCA)*(MT0I+PAD) + (4*LSPA) = 3584
_ds_store_b32 v[vgprLocalWriteAddrA], v[vgprG2LA+20] offset:640 // lwoA_0_0_5_0 = (0 + 0*LSCA)*(MT0I+PAD) + (5*LSPA) = 640
_ds_store_b32 v[vgprLocalWriteAddrA], v[vgprG2LA+21] offset:1664 // lwoA_0_1_5_0 = (1 + 0*LSCA)*(MT0I+PAD) + (5*LSPA) = 1664
_ds_store_b32 v[vgprLocalWriteAddrA], v[vgprG2LA+22] offset:2688 // lwoA_0_2_5_0 = (2 + 0*LSCA)*(MT0I+PAD) + (5*LSPA) = 2688
_ds_store_b32 v[vgprLocalWriteAddrA], v[vgprG2LA+23] offset:3712 // lwoA_0_3_5_0 = (3 + 0*LSCA)*(MT0I+PAD) + (5*LSPA) = 3712
_ds_store_b32 v[vgprLocalWriteAddrA], v[vgprG2LA+24] offset:768 // lwoA_0_0_6_0 = (0 + 0*LSCA)*(MT0I+PAD) + (6*LSPA) = 768
_ds_store_b32 v[vgprLocalWriteAddrA], v[vgprG2LA+25] offset:1792 // lwoA_0_1_6_0 = (1 + 0*LSCA)*(MT0I+PAD) + (6*LSPA) = 1792
_ds_store_b32 v[vgprLocalWriteAddrA], v[vgprG2LA+26] offset:2816 // lwoA_0_2_6_0 = (2 + 0*LSCA)*(MT0I+PAD) + (6*LSPA) = 2816
_ds_store_b32 v[vgprLocalWriteAddrA], v[vgprG2LA+27] offset:3840 // lwoA_0_3_6_0 = (3 + 0*LSCA)*(MT0I+PAD) + (6*LSPA) = 3840
_ds_store_b32 v[vgprLocalWriteAddrA], v[vgprG2LA+28] offset:896 // lwoA_0_0_7_0 = (0 + 0*LSCA)*(MT0I+PAD) + (7*LSPA) = 896
_ds_store_b32 v[vgprLocalWriteAddrA], v[vgprG2LA+29] offset:1920 // lwoA_0_1_7_0 = (1 + 0*LSCA)*(MT0I+PAD) + (7*LSPA) = 1920
_ds_store_b32 v[vgprLocalWriteAddrA], v[vgprG2LA+30] offset:2944 // lwoA_0_2_7_0 = (2 + 0*LSCA)*(MT0I+PAD) + (7*LSPA) = 2944
_ds_store_b32 v[vgprLocalWriteAddrA], v[vgprG2LA+31] offset:3968 // lwoA_0_3_7_0 = (3 + 0*LSCA)*(MT0I+PAD) + (7*LSPA) = 3968


/* local write b */

_ds_store_b32 v[vgprLocalWriteAddrB], v[vgprG2LB+0] offset:0 // lwoB_0_0_0_0 = (0 + 0*LSCB)*(MT1J+PAD) + (0*LSPB) = 0
_ds_store_b32 v[vgprLocalWriteAddrB], v[vgprG2LB+1] offset:1024 // lwoB_0_1_0_0 = (1 + 0*LSCB)*(MT1J+PAD) + (0*LSPB) = 1024
_ds_store_b32 v[vgprLocalWriteAddrB], v[vgprG2LB+2] offset:2048 // lwoB_0_2_0_0 = (2 + 0*LSCB)*(MT1J+PAD) + (0*LSPB) = 2048
_ds_store_b32 v[vgprLocalWriteAddrB], v[vgprG2LB+3] offset:3072 // lwoB_0_3_0_0 = (3 + 0*LSCB)*(MT1J+PAD) + (0*LSPB) = 3072
_ds_store_b32 v[vgprLocalWriteAddrB], v[vgprG2LB+4] offset:128 // lwoB_0_0_1_0 = (0 + 0*LSCB)*(MT1J+PAD) + (1*LSPB) = 128
_ds_store_b32 v[vgprLocalWriteAddrB], v[vgprG2LB+5] offset:1152 // lwoB_0_1_1_0 = (1 + 0*LSCB)*(MT1J+PAD) + (1*LSPB) = 1152
_ds_store_b32 v[vgprLocalWriteAddrB], v[vgprG2LB+6] offset:2176 // lwoB_0_2_1_0 = (2 + 0*LSCB)*(MT1J+PAD) + (1*LSPB) = 2176
_ds_store_b32 v[vgprLocalWriteAddrB], v[vgprG2LB+7] offset:3200 // lwoB_0_3_1_0 = (3 + 0*LSCB)*(MT1J+PAD) + (1*LSPB) = 3200
_ds_store_b32 v[vgprLocalWriteAddrB], v[vgprG2LB+8] offset:256 // lwoB_0_0_2_0 = (0 + 0*LSCB)*(MT1J+PAD) + (2*LSPB) = 256
_ds_store_b32 v[vgprLocalWriteAddrB], v[vgprG2LB+9] offset:1280 // lwoB_0_1_2_0 = (1 + 0*LSCB)*(MT1J+PAD) + (2*LSPB) = 1280
_ds_store_b32 v[vgprLocalWriteAddrB], v[vgprG2LB+10] offset:2304 // lwoB_0_2_2_0 = (2 + 0*LSCB)*(MT1J+PAD) + (2*LSPB) = 2304
_ds_store_b32 v[vgprLocalWriteAddrB], v[vgprG2LB+11] offset:3328 // lwoB_0_3_2_0 = (3 + 0*LSCB)*(MT1J+PAD) + (2*LSPB) = 3328
_ds_store_b32 v[vgprLocalWriteAddrB], v[vgprG2LB+12] offset:384 // lwoB_0_0_3_0 = (0 + 0*LSCB)*(MT1J+PAD) + (3*LSPB) = 384
_ds_store_b32 v[vgprLocalWriteAddrB], v[vgprG2LB+13] offset:1408 // lwoB_0_1_3_0 = (1 + 0*LSCB)*(MT1J+PAD) + (3*LSPB) = 1408
_ds_store_b32 v[vgprLocalWriteAddrB], v[vgprG2LB+14] offset:2432 // lwoB_0_2_3_0 = (2 + 0*LSCB)*(MT1J+PAD) + (3*LSPB) = 2432
_ds_store_b32 v[vgprLocalWriteAddrB], v[vgprG2LB+15] offset:3456 // lwoB_0_3_3_0 = (3 + 0*LSCB)*(MT1J+PAD) + (3*LSPB) = 3456
_ds_store_b32 v[vgprLocalWriteAddrB], v[vgprG2LB+16] offset:512 // lwoB_0_0_4_0 = (0 + 0*LSCB)*(MT1J+PAD) + (4*LSPB) = 512
_ds_store_b32 v[vgprLocalWriteAddrB], v[vgprG2LB+17] offset:1536 // lwoB_0_1_4_0 = (1 + 0*LSCB)*(MT1J+PAD) + (4*LSPB) = 1536
_ds_store_b32 v[vgprLocalWriteAddrB], v[vgprG2LB+18] offset:2560 // lwoB_0_2_4_0 = (2 + 0*LSCB)*(MT1J+PAD) + (4*LSPB) = 2560
_ds_store_b32 v[vgprLocalWriteAddrB], v[vgprG2LB+19] offset:3584 // lwoB_0_3_4_0 = (3 + 0*LSCB)*(MT1J+PAD) + (4*LSPB) = 3584
_ds_store_b32 v[vgprLocalWriteAddrB], v[vgprG2LB+20] offset:640 // lwoB_0_0_5_0 = (0 + 0*LSCB)*(MT1J+PAD) + (5*LSPB) = 640
_ds_store_b32 v[vgprLocalWriteAddrB], v[vgprG2LB+21] offset:1664 // lwoB_0_1_5_0 = (1 + 0*LSCB)*(MT1J+PAD) + (5*LSPB) = 1664
_ds_store_b32 v[vgprLocalWriteAddrB], v[vgprG2LB+22] offset:2688 // lwoB_0_2_5_0 = (2 + 0*LSCB)*(MT1J+PAD) + (5*LSPB) = 2688
_ds_store_b32 v[vgprLocalWriteAddrB], v[vgprG2LB+23] offset:3712 // lwoB_0_3_5_0 = (3 + 0*LSCB)*(MT1J+PAD) + (5*LSPB) = 3712
_ds_store_b32 v[vgprLocalWriteAddrB], v[vgprG2LB+24] offset:768 // lwoB_0_0_6_0 = (0 + 0*LSCB)*(MT1J+PAD) + (6*LSPB) = 768
_ds_store_b32 v[vgprLocalWriteAddrB], v[vgprG2LB+25] offset:1792 // lwoB_0_1_6_0 = (1 + 0*LSCB)*(MT1J+PAD) + (6*LSPB) = 1792
_ds_store_b32 v[vgprLocalWriteAddrB], v[vgprG2LB+26] offset:2816 // lwoB_0_2_6_0 = (2 + 0*LSCB)*(MT1J+PAD) + (6*LSPB) = 2816
_ds_store_b32 v[vgprLocalWriteAddrB], v[vgprG2LB+27] offset:3840 // lwoB_0_3_6_0 = (3 + 0*LSCB)*(MT1J+PAD) + (6*LSPB) = 3840
_ds_store_b32 v[vgprLocalWriteAddrB], v[vgprG2LB+28] offset:896 // lwoB_0_0_7_0 = (0 + 0*LSCB)*(MT1J+PAD) + (7*LSPB) = 896
_ds_store_b32 v[vgprLocalWriteAddrB], v[vgprG2LB+29] offset:1920 // lwoB_0_1_7_0 = (1 + 0*LSCB)*(MT1J+PAD) + (7*LSPB) = 1920
_ds_store_b32 v[vgprLocalWriteAddrB], v[vgprG2LB+30] offset:2944 // lwoB_0_2_7_0 = (2 + 0*LSCB)*(MT1J+PAD) + (7*LSPB) = 2944
_ds_store_b32 v[vgprLocalWriteAddrB], v[vgprG2LB+31] offset:3968 // lwoB_0_3_7_0 = (3 + 0*LSCB)*(MT1J+PAD) + (7*LSPB) = 3968


/* Recalc local read offsets */


s_waitcnt lgkmcnt(0)                               // lgkmcnt=0 vmcnt=-15wait for local write

// Skip force waitcnt0
s_barrier //


/* local read reset offsets a */


	;; [unrolled: 1-line block ×3, first 2 shown]
/* local read reset offsets b */


	;; [unrolled: 1-line block ×3, first 2 shown]
/* local read init pointers a */


/* localReadInitPointers */


/* local read init pointers b */


/* localReadInitPointers */


/* tail loop: macs */

TailLoopBeginL_6:


/* local read a */

_ds_load_b32 v[vgprValuA_X0_I0+0], v[vgprLocalReadAddrA] offset:0 // L -> Reg lro=0 swapByteOffset=0 ti=128 vIdx=0 rIdx=0 oIdx=0 buffer=0 iui=0
_ds_load_b32 v[vgprValuA_X0_I0+1], v[vgprLocalReadAddrA] offset:4 // L -> Reg lro=0 swapByteOffset=0 ti=128 vIdx=0 rIdx=0 oIdx=0 buffer=0 iui=0
	;; [unrolled: 1-line block ×4, first 2 shown]


/* local read b */

_ds_load_b32 v[vgprValuB_X0_I0+0], v[vgprLocalReadAddrB] offset:0 // L -> Reg lro=0 swapByteOffset=0 ti=64 vIdx=0 rIdx=0 oIdx=0 buffer=0 iui=0
_ds_load_b32 v[vgprValuB_X0_I0+1], v[vgprLocalReadAddrB] offset:256 // L -> Reg lro=0 swapByteOffset=0 ti=64 vIdx=1 rIdx=0 oIdx=0 buffer=0 iui=0
_ds_load_b32 v[vgprValuB_X0_I0+2], v[vgprLocalReadAddrB] offset:512 // L -> Reg lro=0 swapByteOffset=0 ti=64 vIdx=2 rIdx=0 oIdx=0 buffer=0 iui=0
_ds_load_b32 v[vgprValuB_X0_I0+3], v[vgprLocalReadAddrB] offset:768 // L -> Reg lro=0 swapByteOffset=0 ti=64 vIdx=3 rIdx=0 oIdx=0 buffer=0 iui=0


/* local read inc a */

s_mov_b32 s31, 0x800                               // inc
_v_add_co_u32 v[vgprLocalReadAddrA], vcc, s31, v[vgprLocalReadAddrA] // lrA += 2048 (LSU*(MT+PAD)*bpe)


/* local read inc b */

s_mov_b32 s31, 0x800                               // inc
_v_add_co_u32 v[vgprLocalReadAddrB], vcc, s31, v[vgprLocalReadAddrB] // lrB += 2048 (LSU*(MT+PAD)*bpe)

s_waitcnt lgkmcnt(0)                               // lgkmcnt=0 vmcnt=-14wait for local read


	;; [unrolled: 1-line block ×3, first 2 shown]
/* tail loop mfma iter 0: numReadsIterCoalescedA=1, numReadsIterCoalescedB=1 */
v_and_b32 v199, 63, v[vgprSerial]                  // v199 = v[vgprSerial] % 64
v_lshrrev_b32 v199, 5, v199                        // v199 = v199 / 32
                                                   // v199 = v199 * 1 (multiplier is 1, do nothing)
v_cmp_ge_i32 s[32:33], v199, s[sgprLoopCounterL]   // check K index >= Size L
v_cndmask_b32 v[vgprValuA_X0_I0+0+0+0+0], v[vgprValuA_X0_I0+0+0+0+0], 0x0, s[32:33] // set 0 if K_idx >= sizeL
v_cndmask_b32 v[vgprValuA_X0_I0+1+0+0+0], v[vgprValuA_X0_I0+1+0+0+0], 0x0, s[32:33] // set 0 if K_idx >= sizeL
	;; [unrolled: 1-line block ×4, first 2 shown]
v_cndmask_b32 v[vgprValuB_X0_I0+0+0+0+0], v[vgprValuB_X0_I0+0+0+0+0], 0x0, s[32:33] // set 0 if K_idx >= sizeL
v_cndmask_b32 v[vgprValuB_X0_I0+1+0+0+0], v[vgprValuB_X0_I0+1+0+0+0], 0x0, s[32:33] // set 0 if K_idx >= sizeL
	;; [unrolled: 1-line block ×4, first 2 shown]
s_nop 1
v_mfma_f32_32x32x2_f32 a[0+0:15+0], v[vgprValuA_X0_I0+0+0+0], v[vgprValuB_X0_I0+0+0+0], a[0:15]
v_mfma_f32_32x32x2_f32 a[16+0:31+0], v[vgprValuA_X0_I0+1+0+0], v[vgprValuB_X0_I0+0+0+0], a[16:31]
	;; [unrolled: 1-line block ×16, first 2 shown]


/* closeLoop loopL finalLoop=1 tailLoop=1 */
s_sub_i32 s[sgprLoopCounterL], s[sgprLoopCounterL], 0x2 // dec counterL (tailLoop)
s_add_u32 s[sgprOrigLoopCounter], s[sgprOrigLoopCounter], 0x2 // inc counterL
s_cmp_le_i32 s[sgprLoopCounterL], 0x0              // counterL<=0
s_cbranch_scc0 TailLoopBeginL_6                    // restart LoopL
TailLoopEndL_7:

SkipTailLoopL_8:

Summation_End_30:
s_setprio 0                                        // optimization store
/* endSummation: add vgpr [0...196) to pool */
.set NumFullBlocks, UNDEF
.set WgmRemainder1, UNDEF
.set MagicNumberWgmRemainder1, UNDEF
.set ScalarGlobalReadOffsetA, UNDEF
.set ScalarGlobalReadOffsetB, UNDEF

/* Mapping of Acc register -> C Vgpr register */


	;; [unrolled: 1-line block ×3, first 2 shown]
/* not-LocalSplitU: global write indices */

/* computeStoreVgprs */
v_lshrrev_b32 v4, 6, v[vgprSerial]                 // v4 = v[vgprSerial] / 64
v_lshrrev_b32 v1, 1, v4                            // v1 = v4 / 2
v_mul_lo_u32 v1, 0x20, v1                          // wave coordination offset 1
v_and_b32 v5, 31, v[vgprSerial]                    // v5 = v[vgprSerial] % 32
_v_add_lshl_u32 v1, v5, v1, 0                      // coordination 1 = vwb *(wave_id1 + tid1)
v_mul_lo_u32 v2, v1, s[sgprStrideC1J]              //  offset 1
v_mul_lo_u32 v3, v1, s[sgprStrideD1J]              //  offset 1
v_and_b32 v0, 63, v[vgprSerial]                    // v0 = v[vgprSerial] % 64
v_lshrrev_b32 v0, 5, v0                            // v0 = v0 / 32
v_lshlrev_b32 v0, 0x2, v0                          // thread0 * continuous_output
v_and_b32 v5, 1, v4                                // v5 = v4 % 2
v_mul_lo_u32 v5, 0x20, v5                          // wave coordination offset 0
_v_add_lshl_u32 v0, v5, v0, 1                      // coordination 0 = vwa *(wave_id0 + tid0)
s_mul_i32 s31, 256, s[sgprWorkGroup0]              // wgp0 * MT0
_v_add_u32 v0, s31, v0                             // coord 0 = (tid0/MI_m)*4 + waveG0*MIB_m + MT0*SG0
s_mul_i32 s31, 256, s[sgprWorkGroup1]              // wgp1 * MT1
_v_add_u32 v1, s31, v1                             // coord 1 = (tid0%MI_m) + waveG1*MIB_n + MT1*SG1


/* not-LocalSplitU: global write */

s_cmpk_eq_u32 s[sgprBeta], 0x0                     // Beta == 0
s_cbranch_scc0 GW_Beta_45                          // Branch if Beta is not zero

s_and_b32 s32, 255, s[sgprSizeI]                   // s32 = s[sgprSizeI] % 256
s_add_u32 s33, -0x1, s[sgprNumWorkGroups0]         // 
s_cmp_ge_u32 s[sgprWorkGroup0], s33                // wg0 >= nwg0-1 ?
s_cselect_b32 s32, s32, 0                          // set rMT0
s_cmpk_gt_u32 s32, 0x0                             // rMT0 > 0
s_cbranch_scc1 GW_B0_E1_36                         // jump if edges required
s_and_b32 s32, 255, s[sgprSizeJ]                   // s32 = s[sgprSizeJ] % 256
s_add_u32 s33, -0x1, s[sgprNumWorkGroups1]         // 
s_cmp_ge_u32 s[sgprWorkGroup1], s33                // wg1 >= nwg1-1
s_cselect_b32 s32, s32, 0                          // set rMT1
s_cmpk_gt_u32 s32, 0x0                             // rMT1 > 0
s_cbranch_scc1 GW_B0_E1_36                         // jump if edges required
GW_B0_E0_33:

/* edge=0, allocate 2 sgpr. perBatchTmpS=2 perBatchMaskS=0 perElementMaskS=0 elementsPerBatch=61 */
/* optSingleColVgpr=1 optSharedColVgpr=0 optSGPRUsage=BufferLoad_Mask optSrdIncForRow=1 */

/******************************************/
/* Global Write Alpha Batch #0 (d1,d0,vc1,vc0) = */
/*    (0,0,0,0:vw4); (0,0,0,4:vw4); (0,1,0,0:vw4); (0,1,0,4:vw4); (0,2,0,0:vw4); (0,2,0,4:vw4); (0,3,0,0:vw4); (0,3,0,4:vw4); (0,4,0,0:vw4); (0,4,0,4:vw4); (0,5,0,0:vw4); (0,5,0,4:vw4); (0,6,0,0:vw4); (0,6,0,4:vw4); (0,7,0,0:vw4); (0,7,0,4:vw4); (1,0,0,0:vw4); (1,0,0,4:vw4); (1,1,0,0:vw4); (1,1,0,4:vw4); (1,2,0,0:vw4); (1,2,0,4:vw4); (1,3,0,0:vw4); (1,3,0,4:vw4); (1,4,0,0:vw4); (1,4,0,4:vw4); (1,5,0,0:vw4); (1,5,0,4:vw4); (1,6,0,0:vw4); (1,6,0,4:vw4); (1,7,0,0:vw4); (1,7,0,4:vw4); (2,0,0,0:vw4); (2,0,0,4:vw4); (2,1,0,0:vw4); (2,1,0,4:vw4); (2,2,0,0:vw4); (2,2,0,4:vw4); (2,3,0,0:vw4); (2,3,0,4:vw4); (2,4,0,0:vw4); (2,4,0,4:vw4); (2,5,0,0:vw4); (2,5,0,4:vw4); (2,6,0,0:vw4); (2,6,0,4:vw4); (2,7,0,0:vw4); (2,7,0,4:vw4); (3,0,0,0:vw4); (3,0,0,4:vw4); (3,1,0,0:vw4); (3,1,0,4:vw4); (3,2,0,0:vw4); (3,2,0,4:vw4); (3,3,0,0:vw4); (3,3,0,4:vw4); (3,4,0,0:vw4); (3,4,0,4:vw4); (3,5,0,0:vw4); (3,5,0,4:vw4); (3,6,0,0:vw4) */
/******************************************/

/* calc coords, apply mask, and issue loads (if necessary) */
/* (d1,vc1,d0,vc0)=(0,0,0,0) */
/* (d1,vc1,d0,vc0)=(0,0,0,4) */
	;; [unrolled: 1-line block ×61, first 2 shown]
_v_add_lshl_u32 v6, v3, v0, 0x2                    // optSingleColVgpr scaleToBpe: sharedAddrVgpr <- cinRowPtr + coord0, scaled by BPE. BSHERE:coord0=0, coord0Vgpr=0
v_accvgpr_read_b32 v[vgprValuC+8], acc0 // copy acc to vreg[0]
v_accvgpr_read_b32 v[vgprValuC+9], acc16 // copy acc to vreg[1]
v_accvgpr_read_b32 v[vgprValuC+10], acc1 // copy acc to vreg[2]
v_accvgpr_read_b32 v[vgprValuC+11], acc17 // copy acc to vreg[3]
v_accvgpr_read_b32 v[vgprValuC+12], acc2 // copy acc to vreg[4]
v_accvgpr_read_b32 v[vgprValuC+13], acc18 // copy acc to vreg[5]
v_accvgpr_read_b32 v[vgprValuC+14], acc3 // copy acc to vreg[6]
v_accvgpr_read_b32 v[vgprValuC+15], acc19 // copy acc to vreg[7]
v_accvgpr_read_b32 v[vgprValuC+16], acc4 // copy acc to vreg[8]
v_accvgpr_read_b32 v[vgprValuC+17], acc20 // copy acc to vreg[9]
v_accvgpr_read_b32 v[vgprValuC+18], acc5 // copy acc to vreg[10]
v_accvgpr_read_b32 v[vgprValuC+19], acc21 // copy acc to vreg[11]
v_accvgpr_read_b32 v[vgprValuC+20], acc6 // copy acc to vreg[12]
v_accvgpr_read_b32 v[vgprValuC+21], acc22 // copy acc to vreg[13]
v_accvgpr_read_b32 v[vgprValuC+22], acc7 // copy acc to vreg[14]
v_accvgpr_read_b32 v[vgprValuC+23], acc23 // copy acc to vreg[15]
v_accvgpr_read_b32 v[vgprValuC+24], acc8 // copy acc to vreg[16]
v_accvgpr_read_b32 v[vgprValuC+25], acc24 // copy acc to vreg[17]
v_accvgpr_read_b32 v[vgprValuC+26], acc9 // copy acc to vreg[18]
v_accvgpr_read_b32 v[vgprValuC+27], acc25 // copy acc to vreg[19]
v_accvgpr_read_b32 v[vgprValuC+28], acc10 // copy acc to vreg[20]
v_accvgpr_read_b32 v[vgprValuC+29], acc26 // copy acc to vreg[21]
v_accvgpr_read_b32 v[vgprValuC+30], acc11 // copy acc to vreg[22]
v_accvgpr_read_b32 v[vgprValuC+31], acc27 // copy acc to vreg[23]
v_accvgpr_read_b32 v[vgprValuC+32], acc12 // copy acc to vreg[24]
v_accvgpr_read_b32 v[vgprValuC+33], acc28 // copy acc to vreg[25]
v_accvgpr_read_b32 v[vgprValuC+34], acc13 // copy acc to vreg[26]
v_accvgpr_read_b32 v[vgprValuC+35], acc29 // copy acc to vreg[27]
v_accvgpr_read_b32 v[vgprValuC+36], acc14 // copy acc to vreg[28]
v_accvgpr_read_b32 v[vgprValuC+37], acc30 // copy acc to vreg[29]
v_accvgpr_read_b32 v[vgprValuC+38], acc15 // copy acc to vreg[30]
v_accvgpr_read_b32 v[vgprValuC+39], acc31 // copy acc to vreg[31]
v_accvgpr_read_b32 v[vgprValuC+40], acc32 // copy acc to vreg[32]
v_accvgpr_read_b32 v[vgprValuC+41], acc48 // copy acc to vreg[33]
v_accvgpr_read_b32 v[vgprValuC+42], acc33 // copy acc to vreg[34]
v_accvgpr_read_b32 v[vgprValuC+43], acc49 // copy acc to vreg[35]
v_accvgpr_read_b32 v[vgprValuC+44], acc34 // copy acc to vreg[36]
v_accvgpr_read_b32 v[vgprValuC+45], acc50 // copy acc to vreg[37]
v_accvgpr_read_b32 v[vgprValuC+46], acc35 // copy acc to vreg[38]
v_accvgpr_read_b32 v[vgprValuC+47], acc51 // copy acc to vreg[39]
v_accvgpr_read_b32 v[vgprValuC+48], acc36 // copy acc to vreg[40]
v_accvgpr_read_b32 v[vgprValuC+49], acc52 // copy acc to vreg[41]
v_accvgpr_read_b32 v[vgprValuC+50], acc37 // copy acc to vreg[42]
v_accvgpr_read_b32 v[vgprValuC+51], acc53 // copy acc to vreg[43]
v_accvgpr_read_b32 v[vgprValuC+52], acc38 // copy acc to vreg[44]
v_accvgpr_read_b32 v[vgprValuC+53], acc54 // copy acc to vreg[45]
v_accvgpr_read_b32 v[vgprValuC+54], acc39 // copy acc to vreg[46]
v_accvgpr_read_b32 v[vgprValuC+55], acc55 // copy acc to vreg[47]
v_accvgpr_read_b32 v[vgprValuC+56], acc40 // copy acc to vreg[48]
v_accvgpr_read_b32 v[vgprValuC+57], acc56 // copy acc to vreg[49]
v_accvgpr_read_b32 v[vgprValuC+58], acc41 // copy acc to vreg[50]
v_accvgpr_read_b32 v[vgprValuC+59], acc57 // copy acc to vreg[51]
v_accvgpr_read_b32 v[vgprValuC+60], acc42 // copy acc to vreg[52]
v_accvgpr_read_b32 v[vgprValuC+61], acc58 // copy acc to vreg[53]
v_accvgpr_read_b32 v[vgprValuC+62], acc43 // copy acc to vreg[54]
v_accvgpr_read_b32 v[vgprValuC+63], acc59 // copy acc to vreg[55]
v_accvgpr_read_b32 v[vgprValuC+64], acc44 // copy acc to vreg[56]
v_accvgpr_read_b32 v[vgprValuC+65], acc60 // copy acc to vreg[57]
v_accvgpr_read_b32 v[vgprValuC+66], acc45 // copy acc to vreg[58]
v_accvgpr_read_b32 v[vgprValuC+67], acc61 // copy acc to vreg[59]
v_accvgpr_read_b32 v[vgprValuC+68], acc46 // copy acc to vreg[60]
v_accvgpr_read_b32 v[vgprValuC+69], acc62 // copy acc to vreg[61]
v_accvgpr_read_b32 v[vgprValuC+70], acc47 // copy acc to vreg[62]
v_accvgpr_read_b32 v[vgprValuC+71], acc63 // copy acc to vreg[63]
v_accvgpr_read_b32 v[vgprValuC+72], acc64 // copy acc to vreg[64]
v_accvgpr_read_b32 v[vgprValuC+73], acc80 // copy acc to vreg[65]
v_accvgpr_read_b32 v[vgprValuC+74], acc65 // copy acc to vreg[66]
v_accvgpr_read_b32 v[vgprValuC+75], acc81 // copy acc to vreg[67]
v_accvgpr_read_b32 v[vgprValuC+76], acc66 // copy acc to vreg[68]
v_accvgpr_read_b32 v[vgprValuC+77], acc82 // copy acc to vreg[69]
v_accvgpr_read_b32 v[vgprValuC+78], acc67 // copy acc to vreg[70]
v_accvgpr_read_b32 v[vgprValuC+79], acc83 // copy acc to vreg[71]
v_accvgpr_read_b32 v[vgprValuC+80], acc68 // copy acc to vreg[72]
v_accvgpr_read_b32 v[vgprValuC+81], acc84 // copy acc to vreg[73]
v_accvgpr_read_b32 v[vgprValuC+82], acc69 // copy acc to vreg[74]
v_accvgpr_read_b32 v[vgprValuC+83], acc85 // copy acc to vreg[75]
v_accvgpr_read_b32 v[vgprValuC+84], acc70 // copy acc to vreg[76]
v_accvgpr_read_b32 v[vgprValuC+85], acc86 // copy acc to vreg[77]
v_accvgpr_read_b32 v[vgprValuC+86], acc71 // copy acc to vreg[78]
v_accvgpr_read_b32 v[vgprValuC+87], acc87 // copy acc to vreg[79]
v_accvgpr_read_b32 v[vgprValuC+88], acc72 // copy acc to vreg[80]
v_accvgpr_read_b32 v[vgprValuC+89], acc88 // copy acc to vreg[81]
v_accvgpr_read_b32 v[vgprValuC+90], acc73 // copy acc to vreg[82]
v_accvgpr_read_b32 v[vgprValuC+91], acc89 // copy acc to vreg[83]
v_accvgpr_read_b32 v[vgprValuC+92], acc74 // copy acc to vreg[84]
v_accvgpr_read_b32 v[vgprValuC+93], acc90 // copy acc to vreg[85]
v_accvgpr_read_b32 v[vgprValuC+94], acc75 // copy acc to vreg[86]
v_accvgpr_read_b32 v[vgprValuC+95], acc91 // copy acc to vreg[87]
v_accvgpr_read_b32 v[vgprValuC+96], acc76 // copy acc to vreg[88]
v_accvgpr_read_b32 v[vgprValuC+97], acc92 // copy acc to vreg[89]
v_accvgpr_read_b32 v[vgprValuC+98], acc77 // copy acc to vreg[90]
v_accvgpr_read_b32 v[vgprValuC+99], acc93 // copy acc to vreg[91]
v_accvgpr_read_b32 v[vgprValuC+100], acc78 // copy acc to vreg[92]
v_accvgpr_read_b32 v[vgprValuC+101], acc94 // copy acc to vreg[93]
v_accvgpr_read_b32 v[vgprValuC+102], acc79 // copy acc to vreg[94]
v_accvgpr_read_b32 v[vgprValuC+103], acc95 // copy acc to vreg[95]
v_accvgpr_read_b32 v[vgprValuC+104], acc96 // copy acc to vreg[96]
v_accvgpr_read_b32 v[vgprValuC+105], acc112 // copy acc to vreg[97]
v_accvgpr_read_b32 v[vgprValuC+106], acc97 // copy acc to vreg[98]
v_accvgpr_read_b32 v[vgprValuC+107], acc113 // copy acc to vreg[99]
v_accvgpr_read_b32 v[vgprValuC+108], acc98 // copy acc to vreg[100]
v_accvgpr_read_b32 v[vgprValuC+109], acc114 // copy acc to vreg[101]
v_accvgpr_read_b32 v[vgprValuC+110], acc99 // copy acc to vreg[102]
v_accvgpr_read_b32 v[vgprValuC+111], acc115 // copy acc to vreg[103]
v_accvgpr_read_b32 v[vgprValuC+112], acc100 // copy acc to vreg[104]
v_accvgpr_read_b32 v[vgprValuC+113], acc116 // copy acc to vreg[105]
v_accvgpr_read_b32 v[vgprValuC+114], acc101 // copy acc to vreg[106]
v_accvgpr_read_b32 v[vgprValuC+115], acc117 // copy acc to vreg[107]
v_accvgpr_read_b32 v[vgprValuC+116], acc102 // copy acc to vreg[108]
v_accvgpr_read_b32 v[vgprValuC+117], acc118 // copy acc to vreg[109]
v_accvgpr_read_b32 v[vgprValuC+118], acc103 // copy acc to vreg[110]
v_accvgpr_read_b32 v[vgprValuC+119], acc119 // copy acc to vreg[111]
v_accvgpr_read_b32 v[vgprValuC+120], acc104 // copy acc to vreg[112]
v_accvgpr_read_b32 v[vgprValuC+121], acc120 // copy acc to vreg[113]
v_accvgpr_read_b32 v[vgprValuC+122], acc105 // copy acc to vreg[114]
v_accvgpr_read_b32 v[vgprValuC+123], acc121 // copy acc to vreg[115]
v_accvgpr_read_b32 v[vgprValuC+124], acc106 // copy acc to vreg[116]
v_accvgpr_read_b32 v[vgprValuC+125], acc122 // copy acc to vreg[117]
v_accvgpr_read_b32 v[vgprValuC+126], acc107 // copy acc to vreg[118]
v_accvgpr_read_b32 v[vgprValuC+127], acc123 // copy acc to vreg[119]
v_accvgpr_read_b32 v[vgprValuC+128], acc108 // copy acc to vreg[120]
v_accvgpr_read_b32 v[vgprValuC+129], acc124 // copy acc to vreg[121]
v_accvgpr_read_b32 v[vgprValuC+130], acc109 // copy acc to vreg[122]
v_accvgpr_read_b32 v[vgprValuC+131], acc125 // copy acc to vreg[123]
v_accvgpr_read_b32 v[vgprValuC+132], acc110 // copy acc to vreg[124]
v_accvgpr_read_b32 v[vgprValuC+133], acc126 // copy acc to vreg[125]
v_accvgpr_read_b32 v[vgprValuC+134], acc111 // copy acc to vreg[126]
v_accvgpr_read_b32 v[vgprValuC+135], acc127 // copy acc to vreg[127]
v_accvgpr_read_b32 v[vgprValuC+136], acc128 // copy acc to vreg[128]
v_accvgpr_read_b32 v[vgprValuC+137], acc144 // copy acc to vreg[129]
v_accvgpr_read_b32 v[vgprValuC+138], acc129 // copy acc to vreg[130]
v_accvgpr_read_b32 v[vgprValuC+139], acc145 // copy acc to vreg[131]
v_accvgpr_read_b32 v[vgprValuC+140], acc130 // copy acc to vreg[132]
v_accvgpr_read_b32 v[vgprValuC+141], acc146 // copy acc to vreg[133]
v_accvgpr_read_b32 v[vgprValuC+142], acc131 // copy acc to vreg[134]
v_accvgpr_read_b32 v[vgprValuC+143], acc147 // copy acc to vreg[135]
v_accvgpr_read_b32 v[vgprValuC+144], acc132 // copy acc to vreg[136]
v_accvgpr_read_b32 v[vgprValuC+145], acc148 // copy acc to vreg[137]
v_accvgpr_read_b32 v[vgprValuC+146], acc133 // copy acc to vreg[138]
v_accvgpr_read_b32 v[vgprValuC+147], acc149 // copy acc to vreg[139]
v_accvgpr_read_b32 v[vgprValuC+148], acc134 // copy acc to vreg[140]
v_accvgpr_read_b32 v[vgprValuC+149], acc150 // copy acc to vreg[141]
v_accvgpr_read_b32 v[vgprValuC+150], acc135 // copy acc to vreg[142]
v_accvgpr_read_b32 v[vgprValuC+151], acc151 // copy acc to vreg[143]
v_accvgpr_read_b32 v[vgprValuC+152], acc136 // copy acc to vreg[144]
v_accvgpr_read_b32 v[vgprValuC+153], acc152 // copy acc to vreg[145]
v_accvgpr_read_b32 v[vgprValuC+154], acc137 // copy acc to vreg[146]
v_accvgpr_read_b32 v[vgprValuC+155], acc153 // copy acc to vreg[147]
v_accvgpr_read_b32 v[vgprValuC+156], acc138 // copy acc to vreg[148]
v_accvgpr_read_b32 v[vgprValuC+157], acc154 // copy acc to vreg[149]
v_accvgpr_read_b32 v[vgprValuC+158], acc139 // copy acc to vreg[150]
v_accvgpr_read_b32 v[vgprValuC+159], acc155 // copy acc to vreg[151]
v_accvgpr_read_b32 v[vgprValuC+160], acc140 // copy acc to vreg[152]
v_accvgpr_read_b32 v[vgprValuC+161], acc156 // copy acc to vreg[153]
v_accvgpr_read_b32 v[vgprValuC+162], acc141 // copy acc to vreg[154]
v_accvgpr_read_b32 v[vgprValuC+163], acc157 // copy acc to vreg[155]
v_accvgpr_read_b32 v[vgprValuC+164], acc142 // copy acc to vreg[156]
v_accvgpr_read_b32 v[vgprValuC+165], acc158 // copy acc to vreg[157]
v_accvgpr_read_b32 v[vgprValuC+166], acc143 // copy acc to vreg[158]
v_accvgpr_read_b32 v[vgprValuC+167], acc159 // copy acc to vreg[159]
v_accvgpr_read_b32 v[vgprValuC+168], acc160 // copy acc to vreg[160]
v_accvgpr_read_b32 v[vgprValuC+169], acc176 // copy acc to vreg[161]
v_accvgpr_read_b32 v[vgprValuC+170], acc161 // copy acc to vreg[162]
v_accvgpr_read_b32 v[vgprValuC+171], acc177 // copy acc to vreg[163]
v_accvgpr_read_b32 v[vgprValuC+172], acc162 // copy acc to vreg[164]
v_accvgpr_read_b32 v[vgprValuC+173], acc178 // copy acc to vreg[165]
v_accvgpr_read_b32 v[vgprValuC+174], acc163 // copy acc to vreg[166]
v_accvgpr_read_b32 v[vgprValuC+175], acc179 // copy acc to vreg[167]
v_accvgpr_read_b32 v[vgprValuC+176], acc164 // copy acc to vreg[168]
v_accvgpr_read_b32 v[vgprValuC+177], acc180 // copy acc to vreg[169]
v_accvgpr_read_b32 v[vgprValuC+178], acc165 // copy acc to vreg[170]
v_accvgpr_read_b32 v[vgprValuC+179], acc181 // copy acc to vreg[171]
v_accvgpr_read_b32 v[vgprValuC+180], acc166 // copy acc to vreg[172]
v_accvgpr_read_b32 v[vgprValuC+181], acc182 // copy acc to vreg[173]
v_accvgpr_read_b32 v[vgprValuC+182], acc167 // copy acc to vreg[174]
v_accvgpr_read_b32 v[vgprValuC+183], acc183 // copy acc to vreg[175]
v_accvgpr_read_b32 v[vgprValuC+184], acc168 // copy acc to vreg[176]
v_accvgpr_read_b32 v[vgprValuC+185], acc184 // copy acc to vreg[177]
v_accvgpr_read_b32 v[vgprValuC+186], acc169 // copy acc to vreg[178]
v_accvgpr_read_b32 v[vgprValuC+187], acc185 // copy acc to vreg[179]
v_accvgpr_read_b32 v[vgprValuC+188], acc170 // copy acc to vreg[180]
v_accvgpr_read_b32 v[vgprValuC+189], acc186 // copy acc to vreg[181]
v_accvgpr_read_b32 v[vgprValuC+190], acc171 // copy acc to vreg[182]
v_accvgpr_read_b32 v[vgprValuC+191], acc187 // copy acc to vreg[183]
v_accvgpr_read_b32 v[vgprValuC+192], acc172 // copy acc to vreg[184]
v_accvgpr_read_b32 v[vgprValuC+193], acc188 // copy acc to vreg[185]
v_accvgpr_read_b32 v[vgprValuC+194], acc173 // copy acc to vreg[186]
v_accvgpr_read_b32 v[vgprValuC+195], acc189 // copy acc to vreg[187]
v_accvgpr_read_b32 v[vgprValuC+200], acc174 // copy acc to vreg[188]
v_accvgpr_read_b32 v[vgprValuC+201], acc190 // copy acc to vreg[189]
v_accvgpr_read_b32 v[vgprValuC+202], acc175 // copy acc to vreg[190]
v_accvgpr_read_b32 v[vgprValuC+203], acc191 // copy acc to vreg[191]
v_accvgpr_read_b32 v[vgprValuC+204], acc192 // copy acc to vreg[192]
v_accvgpr_read_b32 v[vgprValuC+205], acc208 // copy acc to vreg[193]
v_accvgpr_read_b32 v[vgprValuC+206], acc193 // copy acc to vreg[194]
v_accvgpr_read_b32 v[vgprValuC+207], acc209 // copy acc to vreg[195]
v_accvgpr_read_b32 v[vgprValuC+208], acc194 // copy acc to vreg[196]
v_accvgpr_read_b32 v[vgprValuC+209], acc210 // copy acc to vreg[197]
v_accvgpr_read_b32 v[vgprValuC+210], acc195 // copy acc to vreg[198]
v_accvgpr_read_b32 v[vgprValuC+211], acc211 // copy acc to vreg[199]
v_accvgpr_read_b32 v[vgprValuC+212], acc196 // copy acc to vreg[200]
v_accvgpr_read_b32 v[vgprValuC+213], acc212 // copy acc to vreg[201]
v_accvgpr_read_b32 v[vgprValuC+214], acc197 // copy acc to vreg[202]
v_accvgpr_read_b32 v[vgprValuC+215], acc213 // copy acc to vreg[203]
v_accvgpr_read_b32 v[vgprValuC+216], acc198 // copy acc to vreg[204]
v_accvgpr_read_b32 v[vgprValuC+217], acc214 // copy acc to vreg[205]
v_accvgpr_read_b32 v[vgprValuC+218], acc199 // copy acc to vreg[206]
v_accvgpr_read_b32 v[vgprValuC+219], acc215 // copy acc to vreg[207]
v_accvgpr_read_b32 v[vgprValuC+220], acc200 // copy acc to vreg[208]
v_accvgpr_read_b32 v[vgprValuC+221], acc216 // copy acc to vreg[209]
v_accvgpr_read_b32 v[vgprValuC+222], acc201 // copy acc to vreg[210]
v_accvgpr_read_b32 v[vgprValuC+223], acc217 // copy acc to vreg[211]
v_accvgpr_read_b32 v[vgprValuC+224], acc202 // copy acc to vreg[212]
v_accvgpr_read_b32 v[vgprValuC+225], acc218 // copy acc to vreg[213]
v_accvgpr_read_b32 v[vgprValuC+226], acc203 // copy acc to vreg[214]
v_accvgpr_read_b32 v[vgprValuC+227], acc219 // copy acc to vreg[215]
v_accvgpr_read_b32 v[vgprValuC+228], acc204 // copy acc to vreg[216]
v_accvgpr_read_b32 v[vgprValuC+229], acc220 // copy acc to vreg[217]
v_accvgpr_read_b32 v[vgprValuC+230], acc205 // copy acc to vreg[218]
v_accvgpr_read_b32 v[vgprValuC+231], acc221 // copy acc to vreg[219]
v_accvgpr_read_b32 v[vgprValuC+232], acc206 // copy acc to vreg[220]
v_accvgpr_read_b32 v[vgprValuC+233], acc222 // copy acc to vreg[221]
v_accvgpr_read_b32 v[vgprValuC+234], acc207 // copy acc to vreg[222]
v_accvgpr_read_b32 v[vgprValuC+235], acc223 // copy acc to vreg[223]
v_accvgpr_read_b32 v[vgprValuC+236], acc224 // copy acc to vreg[224]
v_accvgpr_read_b32 v[vgprValuC+237], acc240 // copy acc to vreg[225]
v_accvgpr_read_b32 v[vgprValuC+238], acc225 // copy acc to vreg[226]
v_accvgpr_read_b32 v[vgprValuC+239], acc241 // copy acc to vreg[227]
v_accvgpr_read_b32 v[vgprValuC+240], acc226 // copy acc to vreg[228]
v_accvgpr_read_b32 v[vgprValuC+241], acc242 // copy acc to vreg[229]
v_accvgpr_read_b32 v[vgprValuC+242], acc227 // copy acc to vreg[230]
v_accvgpr_read_b32 v[vgprValuC+243], acc243 // copy acc to vreg[231]
v_accvgpr_read_b32 v[vgprValuC+244], acc228 // copy acc to vreg[232]
v_accvgpr_read_b32 v[vgprValuC+245], acc244 // copy acc to vreg[233]
v_accvgpr_read_b32 v[vgprValuC+246], acc229 // copy acc to vreg[234]
v_accvgpr_read_b32 v[vgprValuC+247], acc245 // copy acc to vreg[235]
v_accvgpr_read_b32 v[vgprValuC+248], acc230 // copy acc to vreg[236]
v_accvgpr_read_b32 v[vgprValuC+249], acc246 // copy acc to vreg[237]
v_accvgpr_read_b32 v[vgprValuC+250], acc231 // copy acc to vreg[238]
v_accvgpr_read_b32 v[vgprValuC+251], acc247 // copy acc to vreg[239]
v_accvgpr_read_b32 v[vgprValuC+252], acc232 // copy acc to vreg[240]
v_accvgpr_read_b32 v[vgprValuC+253], acc248 // copy acc to vreg[241]
v_accvgpr_read_b32 v[vgprValuC+254], acc233 // copy acc to vreg[242]
v_accvgpr_read_b32 v[vgprValuC+255], acc249 // copy acc to vreg[243]
s_nop 1                                            // 2 wait states required before reading vgpr

/* rC *= alpha batchElements=[(0, 0, 0, 0), (0, 0, 0, 4), (0, 1, 0, 0), (0, 1, 0, 4), (0, 2, 0, 0), (0, 2, 0, 4), (0, 3, 0, 0), (0, 3, 0, 4), (0, 4, 0, 0), (0, 4, 0, 4), (0, 5, 0, 0), (0, 5, 0, 4), (0, 6, 0, 0), (0, 6, 0, 4), (0, 7, 0, 0), (0, 7, 0, 4), (1, 0, 0, 0), (1, 0, 0, 4), (1, 1, 0, 0), (1, 1, 0, 4), (1, 2, 0, 0), (1, 2, 0, 4), (1, 3, 0, 0), (1, 3, 0, 4), (1, 4, 0, 0), (1, 4, 0, 4), (1, 5, 0, 0), (1, 5, 0, 4), (1, 6, 0, 0), (1, 6, 0, 4), (1, 7, 0, 0), (1, 7, 0, 4), (2, 0, 0, 0), (2, 0, 0, 4), (2, 1, 0, 0), (2, 1, 0, 4), (2, 2, 0, 0), (2, 2, 0, 4), (2, 3, 0, 0), (2, 3, 0, 4), (2, 4, 0, 0), (2, 4, 0, 4), (2, 5, 0, 0), (2, 5, 0, 4), (2, 6, 0, 0), (2, 6, 0, 4), (2, 7, 0, 0), (2, 7, 0, 4), (3, 0, 0, 0), (3, 0, 0, 4), (3, 1, 0, 0), (3, 1, 0, 4), (3, 2, 0, 0), (3, 2, 0, 4), (3, 3, 0, 0), (3, 3, 0, 4), (3, 4, 0, 0), (3, 4, 0, 4), (3, 5, 0, 0), (3, 5, 0, 4), (3, 6, 0, 0)] */
v_mul_f32 v[vgprValuC+8], s[sgprAlpha], v[vgprValuC+8] // *= alpha
v_mul_f32 v[vgprValuC+9], s[sgprAlpha], v[vgprValuC+9] // *= alpha
	;; [unrolled: 1-line block ×244, first 2 shown]

/* apply mask, calc new C and issue writes */
_buffer_store_b128 v[8:11], v6, s[sgprSrdD:sgprSrdD+3], 0, offen, offset:0 // store D
_buffer_store_b128 v[12:15], v6, s[sgprSrdD:sgprSrdD+3], 0, offen, offset:16 // store D
_buffer_store_b128 v[16:19], v6, s[sgprSrdD:sgprSrdD+3], 0, offen, offset:64 // store D
_buffer_store_b128 v[20:23], v6, s[sgprSrdD:sgprSrdD+3], 0, offen, offset:80 // store D
_buffer_store_b128 v[24:27], v6, s[sgprSrdD:sgprSrdD+3], 0, offen, offset:128 // store D
_buffer_store_b128 v[28:31], v6, s[sgprSrdD:sgprSrdD+3], 0, offen, offset:144 // store D
_buffer_store_b128 v[32:35], v6, s[sgprSrdD:sgprSrdD+3], 0, offen, offset:192 // store D
_buffer_store_b128 v[36:39], v6, s[sgprSrdD:sgprSrdD+3], 0, offen, offset:208 // store D
_buffer_store_b128 v[40:43], v6, s[sgprSrdD:sgprSrdD+3], 0, offen, offset:512 // store D
_buffer_store_b128 v[44:47], v6, s[sgprSrdD:sgprSrdD+3], 0, offen, offset:528 // store D
_buffer_store_b128 v[48:51], v6, s[sgprSrdD:sgprSrdD+3], 0, offen, offset:576 // store D
_buffer_store_b128 v[52:55], v6, s[sgprSrdD:sgprSrdD+3], 0, offen, offset:592 // store D
_buffer_store_b128 v[56:59], v6, s[sgprSrdD:sgprSrdD+3], 0, offen, offset:640 // store D
_buffer_store_b128 v[60:63], v6, s[sgprSrdD:sgprSrdD+3], 0, offen, offset:656 // store D
_buffer_store_b128 v[64:67], v6, s[sgprSrdD:sgprSrdD+3], 0, offen, offset:704 // store D
_buffer_store_b128 v[68:71], v6, s[sgprSrdD:sgprSrdD+3], 0, offen, offset:720 // store D
s_mul_i32 s32, s[sgprStrideD1J], 256               // scale StrideD *= numRows(64) * bpe
s_add_u32  s[sgprSrdD+0], s[sgprSrdD+0], s32       // incToNextRow: gra SRD += inc(lower)
s_addc_u32  s[sgprSrdD+1], s[sgprSrdD+1], 0        // incToNextRow: gra SRD += inc(upper)
_buffer_store_b128 v[72:75], v6, s[sgprSrdD:sgprSrdD+3], 0, offen, offset:0 // store D
_buffer_store_b128 v[76:79], v6, s[sgprSrdD:sgprSrdD+3], 0, offen, offset:16 // store D
_buffer_store_b128 v[80:83], v6, s[sgprSrdD:sgprSrdD+3], 0, offen, offset:64 // store D
_buffer_store_b128 v[84:87], v6, s[sgprSrdD:sgprSrdD+3], 0, offen, offset:80 // store D
_buffer_store_b128 v[88:91], v6, s[sgprSrdD:sgprSrdD+3], 0, offen, offset:128 // store D
_buffer_store_b128 v[92:95], v6, s[sgprSrdD:sgprSrdD+3], 0, offen, offset:144 // store D
_buffer_store_b128 v[96:99], v6, s[sgprSrdD:sgprSrdD+3], 0, offen, offset:192 // store D
_buffer_store_b128 v[100:103], v6, s[sgprSrdD:sgprSrdD+3], 0, offen, offset:208 // store D
_buffer_store_b128 v[104:107], v6, s[sgprSrdD:sgprSrdD+3], 0, offen, offset:512 // store D
_buffer_store_b128 v[108:111], v6, s[sgprSrdD:sgprSrdD+3], 0, offen, offset:528 // store D
_buffer_store_b128 v[112:115], v6, s[sgprSrdD:sgprSrdD+3], 0, offen, offset:576 // store D
_buffer_store_b128 v[116:119], v6, s[sgprSrdD:sgprSrdD+3], 0, offen, offset:592 // store D
_buffer_store_b128 v[120:123], v6, s[sgprSrdD:sgprSrdD+3], 0, offen, offset:640 // store D
_buffer_store_b128 v[124:127], v6, s[sgprSrdD:sgprSrdD+3], 0, offen, offset:656 // store D
_buffer_store_b128 v[128:131], v6, s[sgprSrdD:sgprSrdD+3], 0, offen, offset:704 // store D
_buffer_store_b128 v[132:135], v6, s[sgprSrdD:sgprSrdD+3], 0, offen, offset:720 // store D
s_mul_i32 s32, s[sgprStrideD1J], 256               // scale StrideD *= numRows(64) * bpe
s_add_u32  s[sgprSrdD+0], s[sgprSrdD+0], s32       // incToNextRow: gra SRD += inc(lower)
s_addc_u32  s[sgprSrdD+1], s[sgprSrdD+1], 0        // incToNextRow: gra SRD += inc(upper)
	;; [unrolled: 19-line block ×3, first 2 shown]
_buffer_store_b128 v[204:207], v6, s[sgprSrdD:sgprSrdD+3], 0, offen, offset:0 // store D
_buffer_store_b128 v[208:211], v6, s[sgprSrdD:sgprSrdD+3], 0, offen, offset:16 // store D
_buffer_store_b128 v[212:215], v6, s[sgprSrdD:sgprSrdD+3], 0, offen, offset:64 // store D
_buffer_store_b128 v[216:219], v6, s[sgprSrdD:sgprSrdD+3], 0, offen, offset:80 // store D
_buffer_store_b128 v[220:223], v6, s[sgprSrdD:sgprSrdD+3], 0, offen, offset:128 // store D
_buffer_store_b128 v[224:227], v6, s[sgprSrdD:sgprSrdD+3], 0, offen, offset:144 // store D
_buffer_store_b128 v[228:231], v6, s[sgprSrdD:sgprSrdD+3], 0, offen, offset:192 // store D
_buffer_store_b128 v[232:235], v6, s[sgprSrdD:sgprSrdD+3], 0, offen, offset:208 // store D
_buffer_store_b128 v[236:239], v6, s[sgprSrdD:sgprSrdD+3], 0, offen, offset:512 // store D
_buffer_store_b128 v[240:243], v6, s[sgprSrdD:sgprSrdD+3], 0, offen, offset:528 // store D
_buffer_store_b128 v[244:247], v6, s[sgprSrdD:sgprSrdD+3], 0, offen, offset:576 // store D
_buffer_store_b128 v[248:251], v6, s[sgprSrdD:sgprSrdD+3], 0, offen, offset:592 // store D
_buffer_store_b128 v[252:255], v6, s[sgprSrdD:sgprSrdD+3], 0, offen, offset:640 // store D
s_nop 0                                            // 1 wait state required when next inst writes vgprs held by previous dwordx4 store inst
/* optSingleColVgpr=1 optSharedColVgpr=0 optSGPRUsage=BufferLoad_Mask optSrdIncForRow=1 */

/******************************************/
/* Global Write Alpha Batch #1 (d1,d0,vc1,vc0) = */
/*    (3,6,0,4:vw4); (3,7,0,0:vw4); (3,7,0,4:vw4) */
/******************************************/

/* calc coords, apply mask, and issue loads (if necessary) */
/* (d1,vc1,d0,vc0)=(3,0,6,4) */
/* (d1,vc1,d0,vc0)=(3,0,7,0) */
	;; [unrolled: 1-line block ×3, first 2 shown]
v_accvgpr_read_b32 v[vgprValuC+8], acc234 // copy acc to vreg[244]
v_accvgpr_read_b32 v[vgprValuC+9], acc250 // copy acc to vreg[245]
v_accvgpr_read_b32 v[vgprValuC+10], acc235 // copy acc to vreg[246]
v_accvgpr_read_b32 v[vgprValuC+11], acc251 // copy acc to vreg[247]
v_accvgpr_read_b32 v[vgprValuC+12], acc236 // copy acc to vreg[248]
v_accvgpr_read_b32 v[vgprValuC+13], acc252 // copy acc to vreg[249]
v_accvgpr_read_b32 v[vgprValuC+14], acc237 // copy acc to vreg[250]
v_accvgpr_read_b32 v[vgprValuC+15], acc253 // copy acc to vreg[251]
v_accvgpr_read_b32 v[vgprValuC+16], acc238 // copy acc to vreg[252]
v_accvgpr_read_b32 v[vgprValuC+17], acc254 // copy acc to vreg[253]
v_accvgpr_read_b32 v[vgprValuC+18], acc239 // copy acc to vreg[254]
v_accvgpr_read_b32 v[vgprValuC+19], acc255 // copy acc to vreg[255]
s_nop 1                                            // 2 wait states required before reading vgpr

/* rC *= alpha batchElements=[(3, 6, 0, 4), (3, 7, 0, 0), (3, 7, 0, 4)] */
v_mul_f32 v[vgprValuC+8], s[sgprAlpha], v[vgprValuC+8] // *= alpha
v_mul_f32 v[vgprValuC+9], s[sgprAlpha], v[vgprValuC+9] // *= alpha
	;; [unrolled: 1-line block ×12, first 2 shown]

/* apply mask, calc new C and issue writes */
_buffer_store_b128 v[8:11], v6, s[sgprSrdD:sgprSrdD+3], 0, offen, offset:656 // store D
_buffer_store_b128 v[12:15], v6, s[sgprSrdD:sgprSrdD+3], 0, offen, offset:704 // store D
	;; [unrolled: 1-line block ×3, first 2 shown]
s_nop 0                                            // 1 wait state required when next inst writes vgprs held by previous dwordx4 store inst
s_branch label_GW_End_44                           // jump to end
GW_B0_E1_36:

/* edge=1, allocate 6 sgpr. perBatchTmpS=4 perBatchMaskS=2 perElementMaskS=0 elementsPerBatch=123 */
/* optSingleColVgpr=0 optSharedColVgpr=0 optSGPRUsage=BufferLoad_Edge_Mask optSrdIncForRow=0 */

/******************************************/
/* Global Write Alpha Edge Batch #0 (d1,d0,vc1,vc0) = */
/*    (0,0,0,0:vw1); (0,0,0,1:vw1); (0,0,0,2:vw1); (0,0,0,3:vw1); (0,0,0,4:vw1); (0,0,0,5:vw1); (0,0,0,6:vw1); (0,0,0,7:vw1); (0,1,0,0:vw1); (0,1,0,1:vw1); (0,1,0,2:vw1); (0,1,0,3:vw1); (0,1,0,4:vw1); (0,1,0,5:vw1); (0,1,0,6:vw1); (0,1,0,7:vw1); (0,2,0,0:vw1); (0,2,0,1:vw1); (0,2,0,2:vw1); (0,2,0,3:vw1); (0,2,0,4:vw1); (0,2,0,5:vw1); (0,2,0,6:vw1); (0,2,0,7:vw1); (0,3,0,0:vw1); (0,3,0,1:vw1); (0,3,0,2:vw1); (0,3,0,3:vw1); (0,3,0,4:vw1); (0,3,0,5:vw1); (0,3,0,6:vw1); (0,3,0,7:vw1); (0,4,0,0:vw1); (0,4,0,1:vw1); (0,4,0,2:vw1); (0,4,0,3:vw1); (0,4,0,4:vw1); (0,4,0,5:vw1); (0,4,0,6:vw1); (0,4,0,7:vw1); (0,5,0,0:vw1); (0,5,0,1:vw1); (0,5,0,2:vw1); (0,5,0,3:vw1); (0,5,0,4:vw1); (0,5,0,5:vw1); (0,5,0,6:vw1); (0,5,0,7:vw1); (0,6,0,0:vw1); (0,6,0,1:vw1); (0,6,0,2:vw1); (0,6,0,3:vw1); (0,6,0,4:vw1); (0,6,0,5:vw1); (0,6,0,6:vw1); (0,6,0,7:vw1); (0,7,0,0:vw1); (0,7,0,1:vw1); (0,7,0,2:vw1); (0,7,0,3:vw1); (0,7,0,4:vw1); (0,7,0,5:vw1); (0,7,0,6:vw1); (0,7,0,7:vw1); (1,0,0,0:vw1); (1,0,0,1:vw1); (1,0,0,2:vw1); (1,0,0,3:vw1); (1,0,0,4:vw1); (1,0,0,5:vw1); (1,0,0,6:vw1); (1,0,0,7:vw1); (1,1,0,0:vw1); (1,1,0,1:vw1); (1,1,0,2:vw1); (1,1,0,3:vw1); (1,1,0,4:vw1); (1,1,0,5:vw1); (1,1,0,6:vw1); (1,1,0,7:vw1); (1,2,0,0:vw1); (1,2,0,1:vw1); (1,2,0,2:vw1); (1,2,0,3:vw1); (1,2,0,4:vw1); (1,2,0,5:vw1); (1,2,0,6:vw1); (1,2,0,7:vw1); (1,3,0,0:vw1); (1,3,0,1:vw1); (1,3,0,2:vw1); (1,3,0,3:vw1); (1,3,0,4:vw1); (1,3,0,5:vw1); (1,3,0,6:vw1); (1,3,0,7:vw1); (1,4,0,0:vw1); (1,4,0,1:vw1); (1,4,0,2:vw1); (1,4,0,3:vw1); (1,4,0,4:vw1); (1,4,0,5:vw1); (1,4,0,6:vw1); (1,4,0,7:vw1); (1,5,0,0:vw1); (1,5,0,1:vw1); (1,5,0,2:vw1); (1,5,0,3:vw1); (1,5,0,4:vw1); (1,5,0,5:vw1); (1,5,0,6:vw1); (1,5,0,7:vw1); (1,6,0,0:vw1); (1,6,0,1:vw1); (1,6,0,2:vw1); (1,6,0,3:vw1); (1,6,0,4:vw1); (1,6,0,5:vw1); (1,6,0,6:vw1); (1,6,0,7:vw1); (1,7,0,0:vw1); (1,7,0,1:vw1); (1,7,0,2:vw1) */
/******************************************/

/* calc coords, apply mask, and issue loads (if necessary) */
/* (d1,vc1,d0,vc0)=(0,0,0,0) */
v_cmp_lt_u32 s[52:53], v0, s[sgprSizeI]            // coord0 < size0
v_cmp_lt_u32 s[56:57], v1, s[sgprSizeJ]            // coord1 < size1
s_and_b64 s[56:57], s[52:53], s[56:57]             // in0 && in1
_v_add_lshl_u32 v6, v3, v0, 0x2                    // scaleToBpe: accumulate d0 lower and *= bpe into Cin addr
v_cndmask_b32 v6, -1, v6, s[56:57]                 // LDD clip if OOB. offset
/* (d1,vc1,d0,vc0)=(0,0,0,1) */
_v_add_co_u32 v4, vcc, v0, 1                       // coord0.1: coord0 += d0*sg0*VW + vc0
v_cmp_lt_u32 s[52:53], v4, s[sgprSizeI]            // coord0 < size0
v_cmp_lt_u32 s[56:57], v1, s[sgprSizeJ]            // coord1 < size1
s_and_b64 s[56:57], s[52:53], s[56:57]             // in0 && in1
_v_add_lshl_u32 v8, v3, v4, 0x2                    // scaleToBpe: accumulate d0 lower and *= bpe into Cin addr
v_cndmask_b32 v8, -1, v8, s[56:57]                 // LDD clip if OOB. offset
/* (d1,vc1,d0,vc0)=(0,0,0,2) */
_v_add_co_u32 v4, vcc, v0, 2                       // coord0.1: coord0 += d0*sg0*VW + vc0
v_cmp_lt_u32 s[52:53], v4, s[sgprSizeI]            // coord0 < size0
v_cmp_lt_u32 s[56:57], v1, s[sgprSizeJ]            // coord1 < size1
s_and_b64 s[56:57], s[52:53], s[56:57]             // in0 && in1
_v_add_lshl_u32 v10, v3, v4, 0x2                   // scaleToBpe: accumulate d0 lower and *= bpe into Cin addr
v_cndmask_b32 v10, -1, v10, s[56:57]               // LDD clip if OOB. offset
/* (d1,vc1,d0,vc0)=(0,0,0,3) */
_v_add_co_u32 v4, vcc, v0, 3                       // coord0.1: coord0 += d0*sg0*VW + vc0
v_cmp_lt_u32 s[52:53], v4, s[sgprSizeI]            // coord0 < size0
v_cmp_lt_u32 s[56:57], v1, s[sgprSizeJ]            // coord1 < size1
s_and_b64 s[56:57], s[52:53], s[56:57]             // in0 && in1
_v_add_lshl_u32 v12, v3, v4, 0x2                   // scaleToBpe: accumulate d0 lower and *= bpe into Cin addr
v_cndmask_b32 v12, -1, v12, s[56:57]               // LDD clip if OOB. offset
	;; [unrolled: 7-line block ×6, first 2 shown]
/* (d1,vc1,d0,vc0)=(0,0,1,0) */
_v_add_co_u32 v4, vcc, v0, 16                      // coord0.1: coord0 += d0*sg0*VW + vc0
v_cmp_lt_u32 s[52:53], v4, s[sgprSizeI]            // coord0 < size0
v_cmp_lt_u32 s[56:57], v1, s[sgprSizeJ]            // coord1 < size1
s_and_b64 s[56:57], s[52:53], s[56:57]             // in0 && in1
_v_add_lshl_u32 v22, v3, v4, 0x2                   // scaleToBpe: accumulate d0 lower and *= bpe into Cin addr
v_cndmask_b32 v22, -1, v22, s[56:57]               // LDD clip if OOB. offset
/* (d1,vc1,d0,vc0)=(0,0,1,1) */
_v_add_co_u32 v4, vcc, v0, 17                      // coord0.1: coord0 += d0*sg0*VW + vc0
v_cmp_lt_u32 s[52:53], v4, s[sgprSizeI]            // coord0 < size0
v_cmp_lt_u32 s[56:57], v1, s[sgprSizeJ]            // coord1 < size1
s_and_b64 s[56:57], s[52:53], s[56:57]             // in0 && in1
_v_add_lshl_u32 v24, v3, v4, 0x2                   // scaleToBpe: accumulate d0 lower and *= bpe into Cin addr
v_cndmask_b32 v24, -1, v24, s[56:57]               // LDD clip if OOB. offset
	;; [unrolled: 7-line block ×24, first 2 shown]
/* (d1,vc1,d0,vc0)=(0,0,4,0) */
s_mov_b32 s52, 128                                 // coordOffset0 d0=4 vc0=0
_v_add_co_u32 v4, vcc, v0, s52                     // coord0.2: coord0 += d0*sg0*VW + vc0
v_cmp_lt_u32 s[52:53], v4, s[sgprSizeI]            // coord0 < size0
v_cmp_lt_u32 s[56:57], v1, s[sgprSizeJ]            // coord1 < size1
s_and_b64 s[56:57], s[52:53], s[56:57]             // in0 && in1
_v_add_lshl_u32 v70, v3, v4, 0x2                   // scaleToBpe: accumulate d0 lower and *= bpe into Cin addr
v_cndmask_b32 v70, -1, v70, s[56:57]               // LDD clip if OOB. offset
/* (d1,vc1,d0,vc0)=(0,0,4,1) */
s_mov_b32 s52, 129                                 // coordOffset0 d0=4 vc0=1
_v_add_co_u32 v4, vcc, v0, s52                     // coord0.2: coord0 += d0*sg0*VW + vc0
v_cmp_lt_u32 s[52:53], v4, s[sgprSizeI]            // coord0 < size0
v_cmp_lt_u32 s[56:57], v1, s[sgprSizeJ]            // coord1 < size1
s_and_b64 s[56:57], s[52:53], s[56:57]             // in0 && in1
_v_add_lshl_u32 v72, v3, v4, 0x2                   // scaleToBpe: accumulate d0 lower and *= bpe into Cin addr
v_cndmask_b32 v72, -1, v72, s[56:57]               // LDD clip if OOB. offset
	;; [unrolled: 8-line block ×15, first 2 shown]
/* (d1,vc1,d0,vc0)=(0,0,5,7) */
s_mov_b32 s52, 151                                 // coordOffset0 d0=5 vc0=7
_v_add_co_u32 v4, vcc, v0, s52                     // coord0.2: coord0 += d0*sg0*VW + vc0
v_cmp_lt_u32 s[52:53], v4, s[sgprSizeI]            // coord0 < size0
v_cmp_lt_u32 s[56:57], v1, s[sgprSizeJ]            // coord1 < size1
s_and_b64 s[56:57], s[52:53], s[56:57]             // in0 && in1
_v_add_lshl_u32 v100, v3, v4, 0x2                  // scaleToBpe: accumulate d0 lower and *= bpe into Cin addr
v_cndmask_b32 v100, -1, v100, s[56:57]             // LDD clip if OOB. offset
/* (d1,vc1,d0,vc0)=(0,0,6,0) */
s_mov_b32 s52, 160                                 // coordOffset0 d0=6 vc0=0
_v_add_co_u32 v4, vcc, v0, s52                     // coord0.2: coord0 += d0*sg0*VW + vc0
v_cmp_lt_u32 s[52:53], v4, s[sgprSizeI]            // coord0 < size0
v_cmp_lt_u32 s[56:57], v1, s[sgprSizeJ]            // coord1 < size1
s_and_b64 s[56:57], s[52:53], s[56:57]             // in0 && in1
_v_add_lshl_u32 v102, v3, v4, 0x2                  // scaleToBpe: accumulate d0 lower and *= bpe into Cin addr
v_cndmask_b32 v102, -1, v102, s[56:57]             // LDD clip if OOB. offset
	;; [unrolled: 8-line block ×17, first 2 shown]
/* (d1,vc1,d0,vc0)=(1,0,0,0) */
_v_add_co_u32 v1, vcc, v1, 64                      // coord1.1: coord1Vgpr += d1*sg1*VW + vc1

/* Fix for UseInitialStridesCD, emitAddressSetupCode */
s_mul_i32 s52, s[sgprStrideC1J], 64                // scale stride
_v_add_u32 v2, v2, s52                             // ROWINC- Move cinRowPtr to next row
s_mul_i32 s52, s[sgprStrideD1J], 64                // scale stride
_v_add_u32 v3, v3, s52                             // Move coutRowPtr to next row
v_cmp_lt_u32 s[52:53], v0, s[sgprSizeI]            // coord0 < size0
v_cmp_lt_u32 s[56:57], v1, s[sgprSizeJ]            // coord1 < size1
s_and_b64 s[56:57], s[52:53], s[56:57]             // in0 && in1
_v_add_lshl_u32 v134, v3, v0, 0x2                  // scaleToBpe: accumulate d0 lower and *= bpe into Cin addr
v_cndmask_b32 v134, -1, v134, s[56:57]             // LDD clip if OOB. offset
/* (d1,vc1,d0,vc0)=(1,0,0,1) */
_v_add_co_u32 v4, vcc, v0, 1                       // coord0.1: coord0 += d0*sg0*VW + vc0
v_cmp_lt_u32 s[52:53], v4, s[sgprSizeI]            // coord0 < size0
v_cmp_lt_u32 s[56:57], v1, s[sgprSizeJ]            // coord1 < size1
s_and_b64 s[56:57], s[52:53], s[56:57]             // in0 && in1
_v_add_lshl_u32 v136, v3, v4, 0x2                  // scaleToBpe: accumulate d0 lower and *= bpe into Cin addr
v_cndmask_b32 v136, -1, v136, s[56:57]             // LDD clip if OOB. offset
/* (d1,vc1,d0,vc0)=(1,0,0,2) */
_v_add_co_u32 v4, vcc, v0, 2                       // coord0.1: coord0 += d0*sg0*VW + vc0
	;; [unrolled: 7-line block ×7, first 2 shown]
v_cmp_lt_u32 s[52:53], v4, s[sgprSizeI]            // coord0 < size0
v_cmp_lt_u32 s[56:57], v1, s[sgprSizeJ]            // coord1 < size1
s_and_b64 s[56:57], s[52:53], s[56:57]             // in0 && in1
_v_add_lshl_u32 v148, v3, v4, 0x2                  // scaleToBpe: accumulate d0 lower and *= bpe into Cin addr
v_cndmask_b32 v148, -1, v148, s[56:57]             // LDD clip if OOB. offset
/* (d1,vc1,d0,vc0)=(1,0,1,0) */
_v_add_co_u32 v4, vcc, v0, 16                      // coord0.1: coord0 += d0*sg0*VW + vc0
v_cmp_lt_u32 s[52:53], v4, s[sgprSizeI]            // coord0 < size0
v_cmp_lt_u32 s[56:57], v1, s[sgprSizeJ]            // coord1 < size1
s_and_b64 s[56:57], s[52:53], s[56:57]             // in0 && in1
_v_add_lshl_u32 v150, v3, v4, 0x2                  // scaleToBpe: accumulate d0 lower and *= bpe into Cin addr
v_cndmask_b32 v150, -1, v150, s[56:57]             // LDD clip if OOB. offset
/* (d1,vc1,d0,vc0)=(1,0,1,1) */
_v_add_co_u32 v4, vcc, v0, 17                      // coord0.1: coord0 += d0*sg0*VW + vc0
	;; [unrolled: 7-line block ×24, first 2 shown]
v_cmp_lt_u32 s[52:53], v4, s[sgprSizeI]            // coord0 < size0
v_cmp_lt_u32 s[56:57], v1, s[sgprSizeJ]            // coord1 < size1
s_and_b64 s[56:57], s[52:53], s[56:57]             // in0 && in1
_v_add_lshl_u32 v199, v3, v4, 0x2                  // scaleToBpe: accumulate d0 lower and *= bpe into Cin addr
v_cndmask_b32 v199, -1, v199, s[56:57]             // LDD clip if OOB. offset
/* (d1,vc1,d0,vc0)=(1,0,4,0) */
s_mov_b32 s52, 128                                 // coordOffset0 d0=4 vc0=0
_v_add_co_u32 v4, vcc, v0, s52                     // coord0.2: coord0 += d0*sg0*VW + vc0
v_cmp_lt_u32 s[52:53], v4, s[sgprSizeI]            // coord0 < size0
v_cmp_lt_u32 s[56:57], v1, s[sgprSizeJ]            // coord1 < size1
s_and_b64 s[56:57], s[52:53], s[56:57]             // in0 && in1
_v_add_lshl_u32 v201, v3, v4, 0x2                  // scaleToBpe: accumulate d0 lower and *= bpe into Cin addr
v_cndmask_b32 v201, -1, v201, s[56:57]             // LDD clip if OOB. offset
/* (d1,vc1,d0,vc0)=(1,0,4,1) */
s_mov_b32 s52, 129                                 // coordOffset0 d0=4 vc0=1
_v_add_co_u32 v4, vcc, v0, s52                     // coord0.2: coord0 += d0*sg0*VW + vc0
	;; [unrolled: 8-line block ×27, first 2 shown]
v_cmp_lt_u32 s[52:53], v4, s[sgprSizeI]            // coord0 < size0
v_cmp_lt_u32 s[56:57], v1, s[sgprSizeJ]            // coord1 < size1
s_and_b64 s[56:57], s[52:53], s[56:57]             // in0 && in1
_v_add_lshl_u32 v253, v3, v4, 0x2                  // scaleToBpe: accumulate d0 lower and *= bpe into Cin addr
v_cndmask_b32 v253, -1, v253, s[56:57]             // LDD clip if OOB. offset
v_accvgpr_read_b32 v[vgprValuC+7], acc0 // copy acc to vreg[0]
v_accvgpr_read_b32 v[vgprValuC+9], acc16 // copy acc to vreg[1]
v_accvgpr_read_b32 v[vgprValuC+11], acc1 // copy acc to vreg[2]
v_accvgpr_read_b32 v[vgprValuC+13], acc17 // copy acc to vreg[3]
v_accvgpr_read_b32 v[vgprValuC+15], acc2 // copy acc to vreg[4]
v_accvgpr_read_b32 v[vgprValuC+17], acc18 // copy acc to vreg[5]
v_accvgpr_read_b32 v[vgprValuC+19], acc3 // copy acc to vreg[6]
v_accvgpr_read_b32 v[vgprValuC+21], acc19 // copy acc to vreg[7]
v_accvgpr_read_b32 v[vgprValuC+23], acc4 // copy acc to vreg[8]
v_accvgpr_read_b32 v[vgprValuC+25], acc20 // copy acc to vreg[9]
v_accvgpr_read_b32 v[vgprValuC+27], acc5 // copy acc to vreg[10]
v_accvgpr_read_b32 v[vgprValuC+29], acc21 // copy acc to vreg[11]
v_accvgpr_read_b32 v[vgprValuC+31], acc6 // copy acc to vreg[12]
v_accvgpr_read_b32 v[vgprValuC+33], acc22 // copy acc to vreg[13]
v_accvgpr_read_b32 v[vgprValuC+35], acc7 // copy acc to vreg[14]
v_accvgpr_read_b32 v[vgprValuC+37], acc23 // copy acc to vreg[15]
v_accvgpr_read_b32 v[vgprValuC+39], acc8 // copy acc to vreg[16]
v_accvgpr_read_b32 v[vgprValuC+41], acc24 // copy acc to vreg[17]
v_accvgpr_read_b32 v[vgprValuC+43], acc9 // copy acc to vreg[18]
v_accvgpr_read_b32 v[vgprValuC+45], acc25 // copy acc to vreg[19]
v_accvgpr_read_b32 v[vgprValuC+47], acc10 // copy acc to vreg[20]
v_accvgpr_read_b32 v[vgprValuC+49], acc26 // copy acc to vreg[21]
v_accvgpr_read_b32 v[vgprValuC+51], acc11 // copy acc to vreg[22]
v_accvgpr_read_b32 v[vgprValuC+53], acc27 // copy acc to vreg[23]
v_accvgpr_read_b32 v[vgprValuC+55], acc12 // copy acc to vreg[24]
v_accvgpr_read_b32 v[vgprValuC+57], acc28 // copy acc to vreg[25]
v_accvgpr_read_b32 v[vgprValuC+59], acc13 // copy acc to vreg[26]
v_accvgpr_read_b32 v[vgprValuC+61], acc29 // copy acc to vreg[27]
v_accvgpr_read_b32 v[vgprValuC+63], acc14 // copy acc to vreg[28]
v_accvgpr_read_b32 v[vgprValuC+65], acc30 // copy acc to vreg[29]
v_accvgpr_read_b32 v[vgprValuC+67], acc15 // copy acc to vreg[30]
v_accvgpr_read_b32 v[vgprValuC+69], acc31 // copy acc to vreg[31]
v_accvgpr_read_b32 v[vgprValuC+71], acc32 // copy acc to vreg[32]
v_accvgpr_read_b32 v[vgprValuC+73], acc48 // copy acc to vreg[33]
v_accvgpr_read_b32 v[vgprValuC+75], acc33 // copy acc to vreg[34]
v_accvgpr_read_b32 v[vgprValuC+77], acc49 // copy acc to vreg[35]
v_accvgpr_read_b32 v[vgprValuC+79], acc34 // copy acc to vreg[36]
v_accvgpr_read_b32 v[vgprValuC+81], acc50 // copy acc to vreg[37]
v_accvgpr_read_b32 v[vgprValuC+83], acc35 // copy acc to vreg[38]
v_accvgpr_read_b32 v[vgprValuC+85], acc51 // copy acc to vreg[39]
v_accvgpr_read_b32 v[vgprValuC+87], acc36 // copy acc to vreg[40]
v_accvgpr_read_b32 v[vgprValuC+89], acc52 // copy acc to vreg[41]
v_accvgpr_read_b32 v[vgprValuC+91], acc37 // copy acc to vreg[42]
v_accvgpr_read_b32 v[vgprValuC+93], acc53 // copy acc to vreg[43]
v_accvgpr_read_b32 v[vgprValuC+95], acc38 // copy acc to vreg[44]
v_accvgpr_read_b32 v[vgprValuC+97], acc54 // copy acc to vreg[45]
v_accvgpr_read_b32 v[vgprValuC+99], acc39 // copy acc to vreg[46]
v_accvgpr_read_b32 v[vgprValuC+101], acc55 // copy acc to vreg[47]
v_accvgpr_read_b32 v[vgprValuC+103], acc40 // copy acc to vreg[48]
v_accvgpr_read_b32 v[vgprValuC+105], acc56 // copy acc to vreg[49]
v_accvgpr_read_b32 v[vgprValuC+107], acc41 // copy acc to vreg[50]
v_accvgpr_read_b32 v[vgprValuC+109], acc57 // copy acc to vreg[51]
v_accvgpr_read_b32 v[vgprValuC+111], acc42 // copy acc to vreg[52]
v_accvgpr_read_b32 v[vgprValuC+113], acc58 // copy acc to vreg[53]
v_accvgpr_read_b32 v[vgprValuC+115], acc43 // copy acc to vreg[54]
v_accvgpr_read_b32 v[vgprValuC+117], acc59 // copy acc to vreg[55]
v_accvgpr_read_b32 v[vgprValuC+119], acc44 // copy acc to vreg[56]
v_accvgpr_read_b32 v[vgprValuC+121], acc60 // copy acc to vreg[57]
v_accvgpr_read_b32 v[vgprValuC+123], acc45 // copy acc to vreg[58]
v_accvgpr_read_b32 v[vgprValuC+125], acc61 // copy acc to vreg[59]
v_accvgpr_read_b32 v[vgprValuC+127], acc46 // copy acc to vreg[60]
v_accvgpr_read_b32 v[vgprValuC+129], acc62 // copy acc to vreg[61]
v_accvgpr_read_b32 v[vgprValuC+131], acc47 // copy acc to vreg[62]
v_accvgpr_read_b32 v[vgprValuC+133], acc63 // copy acc to vreg[63]
v_accvgpr_read_b32 v[vgprValuC+135], acc64 // copy acc to vreg[64]
v_accvgpr_read_b32 v[vgprValuC+137], acc80 // copy acc to vreg[65]
v_accvgpr_read_b32 v[vgprValuC+139], acc65 // copy acc to vreg[66]
v_accvgpr_read_b32 v[vgprValuC+141], acc81 // copy acc to vreg[67]
v_accvgpr_read_b32 v[vgprValuC+143], acc66 // copy acc to vreg[68]
v_accvgpr_read_b32 v[vgprValuC+145], acc82 // copy acc to vreg[69]
v_accvgpr_read_b32 v[vgprValuC+147], acc67 // copy acc to vreg[70]
v_accvgpr_read_b32 v[vgprValuC+149], acc83 // copy acc to vreg[71]
v_accvgpr_read_b32 v[vgprValuC+151], acc68 // copy acc to vreg[72]
v_accvgpr_read_b32 v[vgprValuC+153], acc84 // copy acc to vreg[73]
v_accvgpr_read_b32 v[vgprValuC+155], acc69 // copy acc to vreg[74]
v_accvgpr_read_b32 v[vgprValuC+157], acc85 // copy acc to vreg[75]
v_accvgpr_read_b32 v[vgprValuC+159], acc70 // copy acc to vreg[76]
v_accvgpr_read_b32 v[vgprValuC+161], acc86 // copy acc to vreg[77]
v_accvgpr_read_b32 v[vgprValuC+163], acc71 // copy acc to vreg[78]
v_accvgpr_read_b32 v[vgprValuC+165], acc87 // copy acc to vreg[79]
v_accvgpr_read_b32 v[vgprValuC+167], acc72 // copy acc to vreg[80]
v_accvgpr_read_b32 v[vgprValuC+169], acc88 // copy acc to vreg[81]
v_accvgpr_read_b32 v[vgprValuC+171], acc73 // copy acc to vreg[82]
v_accvgpr_read_b32 v[vgprValuC+173], acc89 // copy acc to vreg[83]
v_accvgpr_read_b32 v[vgprValuC+175], acc74 // copy acc to vreg[84]
v_accvgpr_read_b32 v[vgprValuC+177], acc90 // copy acc to vreg[85]
v_accvgpr_read_b32 v[vgprValuC+179], acc75 // copy acc to vreg[86]
v_accvgpr_read_b32 v[vgprValuC+181], acc91 // copy acc to vreg[87]
v_accvgpr_read_b32 v[vgprValuC+183], acc76 // copy acc to vreg[88]
v_accvgpr_read_b32 v[vgprValuC+185], acc92 // copy acc to vreg[89]
v_accvgpr_read_b32 v[vgprValuC+187], acc77 // copy acc to vreg[90]
v_accvgpr_read_b32 v[vgprValuC+189], acc93 // copy acc to vreg[91]
v_accvgpr_read_b32 v[vgprValuC+191], acc78 // copy acc to vreg[92]
v_accvgpr_read_b32 v[vgprValuC+193], acc94 // copy acc to vreg[93]
v_accvgpr_read_b32 v[vgprValuC+195], acc79 // copy acc to vreg[94]
v_accvgpr_read_b32 v[vgprValuC+200], acc95 // copy acc to vreg[95]
v_accvgpr_read_b32 v[vgprValuC+202], acc96 // copy acc to vreg[96]
v_accvgpr_read_b32 v[vgprValuC+204], acc112 // copy acc to vreg[97]
v_accvgpr_read_b32 v[vgprValuC+206], acc97 // copy acc to vreg[98]
v_accvgpr_read_b32 v[vgprValuC+208], acc113 // copy acc to vreg[99]
v_accvgpr_read_b32 v[vgprValuC+210], acc98 // copy acc to vreg[100]
v_accvgpr_read_b32 v[vgprValuC+212], acc114 // copy acc to vreg[101]
v_accvgpr_read_b32 v[vgprValuC+214], acc99 // copy acc to vreg[102]
v_accvgpr_read_b32 v[vgprValuC+216], acc115 // copy acc to vreg[103]
v_accvgpr_read_b32 v[vgprValuC+218], acc100 // copy acc to vreg[104]
v_accvgpr_read_b32 v[vgprValuC+220], acc116 // copy acc to vreg[105]
v_accvgpr_read_b32 v[vgprValuC+222], acc101 // copy acc to vreg[106]
v_accvgpr_read_b32 v[vgprValuC+224], acc117 // copy acc to vreg[107]
v_accvgpr_read_b32 v[vgprValuC+226], acc102 // copy acc to vreg[108]
v_accvgpr_read_b32 v[vgprValuC+228], acc118 // copy acc to vreg[109]
v_accvgpr_read_b32 v[vgprValuC+230], acc103 // copy acc to vreg[110]
v_accvgpr_read_b32 v[vgprValuC+232], acc119 // copy acc to vreg[111]
v_accvgpr_read_b32 v[vgprValuC+234], acc104 // copy acc to vreg[112]
v_accvgpr_read_b32 v[vgprValuC+236], acc120 // copy acc to vreg[113]
v_accvgpr_read_b32 v[vgprValuC+238], acc105 // copy acc to vreg[114]
v_accvgpr_read_b32 v[vgprValuC+240], acc121 // copy acc to vreg[115]
v_accvgpr_read_b32 v[vgprValuC+242], acc106 // copy acc to vreg[116]
v_accvgpr_read_b32 v[vgprValuC+244], acc122 // copy acc to vreg[117]
v_accvgpr_read_b32 v[vgprValuC+246], acc107 // copy acc to vreg[118]
v_accvgpr_read_b32 v[vgprValuC+248], acc123 // copy acc to vreg[119]
v_accvgpr_read_b32 v[vgprValuC+250], acc108 // copy acc to vreg[120]
v_accvgpr_read_b32 v[vgprValuC+252], acc124 // copy acc to vreg[121]
v_accvgpr_read_b32 v[vgprValuC+254], acc109 // copy acc to vreg[122]
s_nop 1                                            // 2 wait states required before reading vgpr

/* rC *= alpha batchElements=[(0, 0, 0, 0), (0, 0, 0, 1), (0, 0, 0, 2), (0, 0, 0, 3), (0, 0, 0, 4), (0, 0, 0, 5), (0, 0, 0, 6), (0, 0, 0, 7), (0, 1, 0, 0), (0, 1, 0, 1), (0, 1, 0, 2), (0, 1, 0, 3), (0, 1, 0, 4), (0, 1, 0, 5), (0, 1, 0, 6), (0, 1, 0, 7), (0, 2, 0, 0), (0, 2, 0, 1), (0, 2, 0, 2), (0, 2, 0, 3), (0, 2, 0, 4), (0, 2, 0, 5), (0, 2, 0, 6), (0, 2, 0, 7), (0, 3, 0, 0), (0, 3, 0, 1), (0, 3, 0, 2), (0, 3, 0, 3), (0, 3, 0, 4), (0, 3, 0, 5), (0, 3, 0, 6), (0, 3, 0, 7), (0, 4, 0, 0), (0, 4, 0, 1), (0, 4, 0, 2), (0, 4, 0, 3), (0, 4, 0, 4), (0, 4, 0, 5), (0, 4, 0, 6), (0, 4, 0, 7), (0, 5, 0, 0), (0, 5, 0, 1), (0, 5, 0, 2), (0, 5, 0, 3), (0, 5, 0, 4), (0, 5, 0, 5), (0, 5, 0, 6), (0, 5, 0, 7), (0, 6, 0, 0), (0, 6, 0, 1), (0, 6, 0, 2), (0, 6, 0, 3), (0, 6, 0, 4), (0, 6, 0, 5), (0, 6, 0, 6), (0, 6, 0, 7), (0, 7, 0, 0), (0, 7, 0, 1), (0, 7, 0, 2), (0, 7, 0, 3), (0, 7, 0, 4), (0, 7, 0, 5), (0, 7, 0, 6), (0, 7, 0, 7), (1, 0, 0, 0), (1, 0, 0, 1), (1, 0, 0, 2), (1, 0, 0, 3), (1, 0, 0, 4), (1, 0, 0, 5), (1, 0, 0, 6), (1, 0, 0, 7), (1, 1, 0, 0), (1, 1, 0, 1), (1, 1, 0, 2), (1, 1, 0, 3), (1, 1, 0, 4), (1, 1, 0, 5), (1, 1, 0, 6), (1, 1, 0, 7), (1, 2, 0, 0), (1, 2, 0, 1), (1, 2, 0, 2), (1, 2, 0, 3), (1, 2, 0, 4), (1, 2, 0, 5), (1, 2, 0, 6), (1, 2, 0, 7), (1, 3, 0, 0), (1, 3, 0, 1), (1, 3, 0, 2), (1, 3, 0, 3), (1, 3, 0, 4), (1, 3, 0, 5), (1, 3, 0, 6), (1, 3, 0, 7), (1, 4, 0, 0), (1, 4, 0, 1), (1, 4, 0, 2), (1, 4, 0, 3), (1, 4, 0, 4), (1, 4, 0, 5), (1, 4, 0, 6), (1, 4, 0, 7), (1, 5, 0, 0), (1, 5, 0, 1), (1, 5, 0, 2), (1, 5, 0, 3), (1, 5, 0, 4), (1, 5, 0, 5), (1, 5, 0, 6), (1, 5, 0, 7), (1, 6, 0, 0), (1, 6, 0, 1), (1, 6, 0, 2), (1, 6, 0, 3), (1, 6, 0, 4), (1, 6, 0, 5), (1, 6, 0, 6), (1, 6, 0, 7), (1, 7, 0, 0), (1, 7, 0, 1), (1, 7, 0, 2)] */
v_mul_f32 v[vgprValuC+7], s[sgprAlpha], v[vgprValuC+7] // *= alpha
v_mul_f32 v[vgprValuC+9], s[sgprAlpha], v[vgprValuC+9] // *= alpha
	;; [unrolled: 1-line block ×123, first 2 shown]

/* apply mask, calc new C and issue writes */
_buffer_store_b32 v7, v6, s[sgprSrdD:sgprSrdD+3], 0, offen, offset:0 // store D
_buffer_store_b32 v9, v8, s[sgprSrdD:sgprSrdD+3], 0, offen, offset:0 // store D
	;; [unrolled: 1-line block ×123, first 2 shown]
s_nop 0                                            // 1 wait state required when next inst writes vgprs held by previous dwordx4 store inst
/* optSingleColVgpr=0 optSharedColVgpr=0 optSGPRUsage=BufferLoad_Edge_Mask optSrdIncForRow=0 */

/******************************************/
/* Global Write Alpha Edge Batch #1 (d1,d0,vc1,vc0) = */
/*    (1,7,0,3:vw1); (1,7,0,4:vw1); (1,7,0,5:vw1); (1,7,0,6:vw1); (1,7,0,7:vw1); (2,0,0,0:vw1); (2,0,0,1:vw1); (2,0,0,2:vw1); (2,0,0,3:vw1); (2,0,0,4:vw1); (2,0,0,5:vw1); (2,0,0,6:vw1); (2,0,0,7:vw1); (2,1,0,0:vw1); (2,1,0,1:vw1); (2,1,0,2:vw1); (2,1,0,3:vw1); (2,1,0,4:vw1); (2,1,0,5:vw1); (2,1,0,6:vw1); (2,1,0,7:vw1); (2,2,0,0:vw1); (2,2,0,1:vw1); (2,2,0,2:vw1); (2,2,0,3:vw1); (2,2,0,4:vw1); (2,2,0,5:vw1); (2,2,0,6:vw1); (2,2,0,7:vw1); (2,3,0,0:vw1); (2,3,0,1:vw1); (2,3,0,2:vw1); (2,3,0,3:vw1); (2,3,0,4:vw1); (2,3,0,5:vw1); (2,3,0,6:vw1); (2,3,0,7:vw1); (2,4,0,0:vw1); (2,4,0,1:vw1); (2,4,0,2:vw1); (2,4,0,3:vw1); (2,4,0,4:vw1); (2,4,0,5:vw1); (2,4,0,6:vw1); (2,4,0,7:vw1); (2,5,0,0:vw1); (2,5,0,1:vw1); (2,5,0,2:vw1); (2,5,0,3:vw1); (2,5,0,4:vw1); (2,5,0,5:vw1); (2,5,0,6:vw1); (2,5,0,7:vw1); (2,6,0,0:vw1); (2,6,0,1:vw1); (2,6,0,2:vw1); (2,6,0,3:vw1); (2,6,0,4:vw1); (2,6,0,5:vw1); (2,6,0,6:vw1); (2,6,0,7:vw1); (2,7,0,0:vw1); (2,7,0,1:vw1); (2,7,0,2:vw1); (2,7,0,3:vw1); (2,7,0,4:vw1); (2,7,0,5:vw1); (2,7,0,6:vw1); (2,7,0,7:vw1); (3,0,0,0:vw1); (3,0,0,1:vw1); (3,0,0,2:vw1); (3,0,0,3:vw1); (3,0,0,4:vw1); (3,0,0,5:vw1); (3,0,0,6:vw1); (3,0,0,7:vw1); (3,1,0,0:vw1); (3,1,0,1:vw1); (3,1,0,2:vw1); (3,1,0,3:vw1); (3,1,0,4:vw1); (3,1,0,5:vw1); (3,1,0,6:vw1); (3,1,0,7:vw1); (3,2,0,0:vw1); (3,2,0,1:vw1); (3,2,0,2:vw1); (3,2,0,3:vw1); (3,2,0,4:vw1); (3,2,0,5:vw1); (3,2,0,6:vw1); (3,2,0,7:vw1); (3,3,0,0:vw1); (3,3,0,1:vw1); (3,3,0,2:vw1); (3,3,0,3:vw1); (3,3,0,4:vw1); (3,3,0,5:vw1); (3,3,0,6:vw1); (3,3,0,7:vw1); (3,4,0,0:vw1); (3,4,0,1:vw1); (3,4,0,2:vw1); (3,4,0,3:vw1); (3,4,0,4:vw1); (3,4,0,5:vw1); (3,4,0,6:vw1); (3,4,0,7:vw1); (3,5,0,0:vw1); (3,5,0,1:vw1); (3,5,0,2:vw1); (3,5,0,3:vw1); (3,5,0,4:vw1); (3,5,0,5:vw1); (3,5,0,6:vw1); (3,5,0,7:vw1); (3,6,0,0:vw1); (3,6,0,1:vw1); (3,6,0,2:vw1); (3,6,0,3:vw1); (3,6,0,4:vw1); (3,6,0,5:vw1) */
/******************************************/

/* calc coords, apply mask, and issue loads (if necessary) */
/* (d1,vc1,d0,vc0)=(1,0,7,3) */
s_mov_b32 s52, 179                                 // coordOffset0 d0=7 vc0=3
_v_add_co_u32 v4, vcc, v0, s52                     // coord0.2: coord0 += d0*sg0*VW + vc0
v_cmp_lt_u32 s[52:53], v4, s[sgprSizeI]            // coord0 < size0
v_cmp_lt_u32 s[56:57], v1, s[sgprSizeJ]            // coord1 < size1
s_and_b64 s[56:57], s[52:53], s[56:57]             // in0 && in1
_v_add_lshl_u32 v6, v3, v4, 0x2                    // scaleToBpe: accumulate d0 lower and *= bpe into Cin addr
v_cndmask_b32 v6, -1, v6, s[56:57]                 // LDD clip if OOB. offset
/* (d1,vc1,d0,vc0)=(1,0,7,4) */
s_mov_b32 s52, 180                                 // coordOffset0 d0=7 vc0=4
_v_add_co_u32 v4, vcc, v0, s52                     // coord0.2: coord0 += d0*sg0*VW + vc0
v_cmp_lt_u32 s[52:53], v4, s[sgprSizeI]            // coord0 < size0
v_cmp_lt_u32 s[56:57], v1, s[sgprSizeJ]            // coord1 < size1
s_and_b64 s[56:57], s[52:53], s[56:57]             // in0 && in1
_v_add_lshl_u32 v8, v3, v4, 0x2                    // scaleToBpe: accumulate d0 lower and *= bpe into Cin addr
v_cndmask_b32 v8, -1, v8, s[56:57]                 // LDD clip if OOB. offset
/* (d1,vc1,d0,vc0)=(1,0,7,5) */
s_mov_b32 s52, 181                                 // coordOffset0 d0=7 vc0=5
_v_add_co_u32 v4, vcc, v0, s52                     // coord0.2: coord0 += d0*sg0*VW + vc0
v_cmp_lt_u32 s[52:53], v4, s[sgprSizeI]            // coord0 < size0
v_cmp_lt_u32 s[56:57], v1, s[sgprSizeJ]            // coord1 < size1
s_and_b64 s[56:57], s[52:53], s[56:57]             // in0 && in1
_v_add_lshl_u32 v10, v3, v4, 0x2                   // scaleToBpe: accumulate d0 lower and *= bpe into Cin addr
v_cndmask_b32 v10, -1, v10, s[56:57]               // LDD clip if OOB. offset
/* (d1,vc1,d0,vc0)=(1,0,7,6) */
s_mov_b32 s52, 182                                 // coordOffset0 d0=7 vc0=6
_v_add_co_u32 v4, vcc, v0, s52                     // coord0.2: coord0 += d0*sg0*VW + vc0
v_cmp_lt_u32 s[52:53], v4, s[sgprSizeI]            // coord0 < size0
v_cmp_lt_u32 s[56:57], v1, s[sgprSizeJ]            // coord1 < size1
s_and_b64 s[56:57], s[52:53], s[56:57]             // in0 && in1
_v_add_lshl_u32 v12, v3, v4, 0x2                   // scaleToBpe: accumulate d0 lower and *= bpe into Cin addr
v_cndmask_b32 v12, -1, v12, s[56:57]               // LDD clip if OOB. offset
	;; [unrolled: 8-line block ×3, first 2 shown]
/* (d1,vc1,d0,vc0)=(2,0,0,0) */
_v_add_co_u32 v1, vcc, v1, 64                      // coord1.1: coord1Vgpr += d1*sg1*VW + vc1

/* Fix for UseInitialStridesCD, emitAddressSetupCode */
s_mul_i32 s52, s[sgprStrideC1J], 64                // scale stride
_v_add_u32 v2, v2, s52                             // ROWINC- Move cinRowPtr to next row
s_mul_i32 s52, s[sgprStrideD1J], 64                // scale stride
_v_add_u32 v3, v3, s52                             // Move coutRowPtr to next row
v_cmp_lt_u32 s[52:53], v0, s[sgprSizeI]            // coord0 < size0
v_cmp_lt_u32 s[56:57], v1, s[sgprSizeJ]            // coord1 < size1
s_and_b64 s[56:57], s[52:53], s[56:57]             // in0 && in1
_v_add_lshl_u32 v16, v3, v0, 0x2                   // scaleToBpe: accumulate d0 lower and *= bpe into Cin addr
v_cndmask_b32 v16, -1, v16, s[56:57]               // LDD clip if OOB. offset
/* (d1,vc1,d0,vc0)=(2,0,0,1) */
_v_add_co_u32 v4, vcc, v0, 1                       // coord0.1: coord0 += d0*sg0*VW + vc0
v_cmp_lt_u32 s[52:53], v4, s[sgprSizeI]            // coord0 < size0
v_cmp_lt_u32 s[56:57], v1, s[sgprSizeJ]            // coord1 < size1
s_and_b64 s[56:57], s[52:53], s[56:57]             // in0 && in1
_v_add_lshl_u32 v18, v3, v4, 0x2                   // scaleToBpe: accumulate d0 lower and *= bpe into Cin addr
v_cndmask_b32 v18, -1, v18, s[56:57]               // LDD clip if OOB. offset
/* (d1,vc1,d0,vc0)=(2,0,0,2) */
_v_add_co_u32 v4, vcc, v0, 2                       // coord0.1: coord0 += d0*sg0*VW + vc0
	;; [unrolled: 7-line block ×7, first 2 shown]
v_cmp_lt_u32 s[52:53], v4, s[sgprSizeI]            // coord0 < size0
v_cmp_lt_u32 s[56:57], v1, s[sgprSizeJ]            // coord1 < size1
s_and_b64 s[56:57], s[52:53], s[56:57]             // in0 && in1
_v_add_lshl_u32 v30, v3, v4, 0x2                   // scaleToBpe: accumulate d0 lower and *= bpe into Cin addr
v_cndmask_b32 v30, -1, v30, s[56:57]               // LDD clip if OOB. offset
/* (d1,vc1,d0,vc0)=(2,0,1,0) */
_v_add_co_u32 v4, vcc, v0, 16                      // coord0.1: coord0 += d0*sg0*VW + vc0
v_cmp_lt_u32 s[52:53], v4, s[sgprSizeI]            // coord0 < size0
v_cmp_lt_u32 s[56:57], v1, s[sgprSizeJ]            // coord1 < size1
s_and_b64 s[56:57], s[52:53], s[56:57]             // in0 && in1
_v_add_lshl_u32 v32, v3, v4, 0x2                   // scaleToBpe: accumulate d0 lower and *= bpe into Cin addr
v_cndmask_b32 v32, -1, v32, s[56:57]               // LDD clip if OOB. offset
/* (d1,vc1,d0,vc0)=(2,0,1,1) */
_v_add_co_u32 v4, vcc, v0, 17                      // coord0.1: coord0 += d0*sg0*VW + vc0
	;; [unrolled: 7-line block ×24, first 2 shown]
v_cmp_lt_u32 s[52:53], v4, s[sgprSizeI]            // coord0 < size0
v_cmp_lt_u32 s[56:57], v1, s[sgprSizeJ]            // coord1 < size1
s_and_b64 s[56:57], s[52:53], s[56:57]             // in0 && in1
_v_add_lshl_u32 v78, v3, v4, 0x2                   // scaleToBpe: accumulate d0 lower and *= bpe into Cin addr
v_cndmask_b32 v78, -1, v78, s[56:57]               // LDD clip if OOB. offset
/* (d1,vc1,d0,vc0)=(2,0,4,0) */
s_mov_b32 s52, 128                                 // coordOffset0 d0=4 vc0=0
_v_add_co_u32 v4, vcc, v0, s52                     // coord0.2: coord0 += d0*sg0*VW + vc0
v_cmp_lt_u32 s[52:53], v4, s[sgprSizeI]            // coord0 < size0
v_cmp_lt_u32 s[56:57], v1, s[sgprSizeJ]            // coord1 < size1
s_and_b64 s[56:57], s[52:53], s[56:57]             // in0 && in1
_v_add_lshl_u32 v80, v3, v4, 0x2                   // scaleToBpe: accumulate d0 lower and *= bpe into Cin addr
v_cndmask_b32 v80, -1, v80, s[56:57]               // LDD clip if OOB. offset
/* (d1,vc1,d0,vc0)=(2,0,4,1) */
s_mov_b32 s52, 129                                 // coordOffset0 d0=4 vc0=1
_v_add_co_u32 v4, vcc, v0, s52                     // coord0.2: coord0 += d0*sg0*VW + vc0
	;; [unrolled: 8-line block ×11, first 2 shown]
v_cmp_lt_u32 s[52:53], v4, s[sgprSizeI]            // coord0 < size0
v_cmp_lt_u32 s[56:57], v1, s[sgprSizeJ]            // coord1 < size1
s_and_b64 s[56:57], s[52:53], s[56:57]             // in0 && in1
_v_add_lshl_u32 v100, v3, v4, 0x2                  // scaleToBpe: accumulate d0 lower and *= bpe into Cin addr
v_cndmask_b32 v100, -1, v100, s[56:57]             // LDD clip if OOB. offset
/* (d1,vc1,d0,vc0)=(2,0,5,3) */
s_mov_b32 s52, 147                                 // coordOffset0 d0=5 vc0=3
_v_add_co_u32 v4, vcc, v0, s52                     // coord0.2: coord0 += d0*sg0*VW + vc0
v_cmp_lt_u32 s[52:53], v4, s[sgprSizeI]            // coord0 < size0
v_cmp_lt_u32 s[56:57], v1, s[sgprSizeJ]            // coord1 < size1
s_and_b64 s[56:57], s[52:53], s[56:57]             // in0 && in1
_v_add_lshl_u32 v102, v3, v4, 0x2                  // scaleToBpe: accumulate d0 lower and *= bpe into Cin addr
v_cndmask_b32 v102, -1, v102, s[56:57]             // LDD clip if OOB. offset
/* (d1,vc1,d0,vc0)=(2,0,5,4) */
s_mov_b32 s52, 148                                 // coordOffset0 d0=5 vc0=4
_v_add_co_u32 v4, vcc, v0, s52                     // coord0.2: coord0 += d0*sg0*VW + vc0
	;; [unrolled: 8-line block ×21, first 2 shown]
v_cmp_lt_u32 s[52:53], v4, s[sgprSizeI]            // coord0 < size0
v_cmp_lt_u32 s[56:57], v1, s[sgprSizeJ]            // coord1 < size1
s_and_b64 s[56:57], s[52:53], s[56:57]             // in0 && in1
_v_add_lshl_u32 v142, v3, v4, 0x2                  // scaleToBpe: accumulate d0 lower and *= bpe into Cin addr
v_cndmask_b32 v142, -1, v142, s[56:57]             // LDD clip if OOB. offset
/* (d1,vc1,d0,vc0)=(3,0,0,0) */
_v_add_co_u32 v1, vcc, v1, 64                      // coord1.1: coord1Vgpr += d1*sg1*VW + vc1

/* Fix for UseInitialStridesCD, emitAddressSetupCode */
s_mul_i32 s52, s[sgprStrideC1J], 64                // scale stride
_v_add_u32 v2, v2, s52                             // ROWINC- Move cinRowPtr to next row
s_mul_i32 s52, s[sgprStrideD1J], 64                // scale stride
_v_add_u32 v3, v3, s52                             // Move coutRowPtr to next row
v_cmp_lt_u32 s[52:53], v0, s[sgprSizeI]            // coord0 < size0
v_cmp_lt_u32 s[56:57], v1, s[sgprSizeJ]            // coord1 < size1
s_and_b64 s[56:57], s[52:53], s[56:57]             // in0 && in1
_v_add_lshl_u32 v144, v3, v0, 0x2                  // scaleToBpe: accumulate d0 lower and *= bpe into Cin addr
v_cndmask_b32 v144, -1, v144, s[56:57]             // LDD clip if OOB. offset
/* (d1,vc1,d0,vc0)=(3,0,0,1) */
_v_add_co_u32 v4, vcc, v0, 1                       // coord0.1: coord0 += d0*sg0*VW + vc0
v_cmp_lt_u32 s[52:53], v4, s[sgprSizeI]            // coord0 < size0
v_cmp_lt_u32 s[56:57], v1, s[sgprSizeJ]            // coord1 < size1
s_and_b64 s[56:57], s[52:53], s[56:57]             // in0 && in1
_v_add_lshl_u32 v146, v3, v4, 0x2                  // scaleToBpe: accumulate d0 lower and *= bpe into Cin addr
v_cndmask_b32 v146, -1, v146, s[56:57]             // LDD clip if OOB. offset
/* (d1,vc1,d0,vc0)=(3,0,0,2) */
_v_add_co_u32 v4, vcc, v0, 2                       // coord0.1: coord0 += d0*sg0*VW + vc0
	;; [unrolled: 7-line block ×7, first 2 shown]
v_cmp_lt_u32 s[52:53], v4, s[sgprSizeI]            // coord0 < size0
v_cmp_lt_u32 s[56:57], v1, s[sgprSizeJ]            // coord1 < size1
s_and_b64 s[56:57], s[52:53], s[56:57]             // in0 && in1
_v_add_lshl_u32 v158, v3, v4, 0x2                  // scaleToBpe: accumulate d0 lower and *= bpe into Cin addr
v_cndmask_b32 v158, -1, v158, s[56:57]             // LDD clip if OOB. offset
/* (d1,vc1,d0,vc0)=(3,0,1,0) */
_v_add_co_u32 v4, vcc, v0, 16                      // coord0.1: coord0 += d0*sg0*VW + vc0
v_cmp_lt_u32 s[52:53], v4, s[sgprSizeI]            // coord0 < size0
v_cmp_lt_u32 s[56:57], v1, s[sgprSizeJ]            // coord1 < size1
s_and_b64 s[56:57], s[52:53], s[56:57]             // in0 && in1
_v_add_lshl_u32 v160, v3, v4, 0x2                  // scaleToBpe: accumulate d0 lower and *= bpe into Cin addr
v_cndmask_b32 v160, -1, v160, s[56:57]             // LDD clip if OOB. offset
/* (d1,vc1,d0,vc0)=(3,0,1,1) */
_v_add_co_u32 v4, vcc, v0, 17                      // coord0.1: coord0 += d0*sg0*VW + vc0
	;; [unrolled: 7-line block ×24, first 2 shown]
v_cmp_lt_u32 s[52:53], v4, s[sgprSizeI]            // coord0 < size0
v_cmp_lt_u32 s[56:57], v1, s[sgprSizeJ]            // coord1 < size1
s_and_b64 s[56:57], s[52:53], s[56:57]             // in0 && in1
_v_add_lshl_u32 v209, v3, v4, 0x2                  // scaleToBpe: accumulate d0 lower and *= bpe into Cin addr
v_cndmask_b32 v209, -1, v209, s[56:57]             // LDD clip if OOB. offset
/* (d1,vc1,d0,vc0)=(3,0,4,0) */
s_mov_b32 s52, 128                                 // coordOffset0 d0=4 vc0=0
_v_add_co_u32 v4, vcc, v0, s52                     // coord0.2: coord0 += d0*sg0*VW + vc0
v_cmp_lt_u32 s[52:53], v4, s[sgprSizeI]            // coord0 < size0
v_cmp_lt_u32 s[56:57], v1, s[sgprSizeJ]            // coord1 < size1
s_and_b64 s[56:57], s[52:53], s[56:57]             // in0 && in1
_v_add_lshl_u32 v211, v3, v4, 0x2                  // scaleToBpe: accumulate d0 lower and *= bpe into Cin addr
v_cndmask_b32 v211, -1, v211, s[56:57]             // LDD clip if OOB. offset
/* (d1,vc1,d0,vc0)=(3,0,4,1) */
s_mov_b32 s52, 129                                 // coordOffset0 d0=4 vc0=1
_v_add_co_u32 v4, vcc, v0, s52                     // coord0.2: coord0 += d0*sg0*VW + vc0
	;; [unrolled: 8-line block ×22, first 2 shown]
v_cmp_lt_u32 s[52:53], v4, s[sgprSizeI]            // coord0 < size0
v_cmp_lt_u32 s[56:57], v1, s[sgprSizeJ]            // coord1 < size1
s_and_b64 s[56:57], s[52:53], s[56:57]             // in0 && in1
_v_add_lshl_u32 v253, v3, v4, 0x2                  // scaleToBpe: accumulate d0 lower and *= bpe into Cin addr
v_cndmask_b32 v253, -1, v253, s[56:57]             // LDD clip if OOB. offset
v_accvgpr_read_b32 v[vgprValuC+7], acc125 // copy acc to vreg[123]
v_accvgpr_read_b32 v[vgprValuC+9], acc110 // copy acc to vreg[124]
v_accvgpr_read_b32 v[vgprValuC+11], acc126 // copy acc to vreg[125]
v_accvgpr_read_b32 v[vgprValuC+13], acc111 // copy acc to vreg[126]
v_accvgpr_read_b32 v[vgprValuC+15], acc127 // copy acc to vreg[127]
v_accvgpr_read_b32 v[vgprValuC+17], acc128 // copy acc to vreg[128]
v_accvgpr_read_b32 v[vgprValuC+19], acc144 // copy acc to vreg[129]
v_accvgpr_read_b32 v[vgprValuC+21], acc129 // copy acc to vreg[130]
v_accvgpr_read_b32 v[vgprValuC+23], acc145 // copy acc to vreg[131]
v_accvgpr_read_b32 v[vgprValuC+25], acc130 // copy acc to vreg[132]
v_accvgpr_read_b32 v[vgprValuC+27], acc146 // copy acc to vreg[133]
v_accvgpr_read_b32 v[vgprValuC+29], acc131 // copy acc to vreg[134]
v_accvgpr_read_b32 v[vgprValuC+31], acc147 // copy acc to vreg[135]
v_accvgpr_read_b32 v[vgprValuC+33], acc132 // copy acc to vreg[136]
v_accvgpr_read_b32 v[vgprValuC+35], acc148 // copy acc to vreg[137]
v_accvgpr_read_b32 v[vgprValuC+37], acc133 // copy acc to vreg[138]
v_accvgpr_read_b32 v[vgprValuC+39], acc149 // copy acc to vreg[139]
v_accvgpr_read_b32 v[vgprValuC+41], acc134 // copy acc to vreg[140]
v_accvgpr_read_b32 v[vgprValuC+43], acc150 // copy acc to vreg[141]
v_accvgpr_read_b32 v[vgprValuC+45], acc135 // copy acc to vreg[142]
v_accvgpr_read_b32 v[vgprValuC+47], acc151 // copy acc to vreg[143]
v_accvgpr_read_b32 v[vgprValuC+49], acc136 // copy acc to vreg[144]
v_accvgpr_read_b32 v[vgprValuC+51], acc152 // copy acc to vreg[145]
v_accvgpr_read_b32 v[vgprValuC+53], acc137 // copy acc to vreg[146]
v_accvgpr_read_b32 v[vgprValuC+55], acc153 // copy acc to vreg[147]
v_accvgpr_read_b32 v[vgprValuC+57], acc138 // copy acc to vreg[148]
v_accvgpr_read_b32 v[vgprValuC+59], acc154 // copy acc to vreg[149]
v_accvgpr_read_b32 v[vgprValuC+61], acc139 // copy acc to vreg[150]
v_accvgpr_read_b32 v[vgprValuC+63], acc155 // copy acc to vreg[151]
v_accvgpr_read_b32 v[vgprValuC+65], acc140 // copy acc to vreg[152]
v_accvgpr_read_b32 v[vgprValuC+67], acc156 // copy acc to vreg[153]
v_accvgpr_read_b32 v[vgprValuC+69], acc141 // copy acc to vreg[154]
v_accvgpr_read_b32 v[vgprValuC+71], acc157 // copy acc to vreg[155]
v_accvgpr_read_b32 v[vgprValuC+73], acc142 // copy acc to vreg[156]
v_accvgpr_read_b32 v[vgprValuC+75], acc158 // copy acc to vreg[157]
v_accvgpr_read_b32 v[vgprValuC+77], acc143 // copy acc to vreg[158]
v_accvgpr_read_b32 v[vgprValuC+79], acc159 // copy acc to vreg[159]
v_accvgpr_read_b32 v[vgprValuC+81], acc160 // copy acc to vreg[160]
v_accvgpr_read_b32 v[vgprValuC+83], acc176 // copy acc to vreg[161]
v_accvgpr_read_b32 v[vgprValuC+85], acc161 // copy acc to vreg[162]
v_accvgpr_read_b32 v[vgprValuC+87], acc177 // copy acc to vreg[163]
v_accvgpr_read_b32 v[vgprValuC+89], acc162 // copy acc to vreg[164]
v_accvgpr_read_b32 v[vgprValuC+91], acc178 // copy acc to vreg[165]
v_accvgpr_read_b32 v[vgprValuC+93], acc163 // copy acc to vreg[166]
v_accvgpr_read_b32 v[vgprValuC+95], acc179 // copy acc to vreg[167]
v_accvgpr_read_b32 v[vgprValuC+97], acc164 // copy acc to vreg[168]
v_accvgpr_read_b32 v[vgprValuC+99], acc180 // copy acc to vreg[169]
v_accvgpr_read_b32 v[vgprValuC+101], acc165 // copy acc to vreg[170]
v_accvgpr_read_b32 v[vgprValuC+103], acc181 // copy acc to vreg[171]
v_accvgpr_read_b32 v[vgprValuC+105], acc166 // copy acc to vreg[172]
v_accvgpr_read_b32 v[vgprValuC+107], acc182 // copy acc to vreg[173]
v_accvgpr_read_b32 v[vgprValuC+109], acc167 // copy acc to vreg[174]
v_accvgpr_read_b32 v[vgprValuC+111], acc183 // copy acc to vreg[175]
v_accvgpr_read_b32 v[vgprValuC+113], acc168 // copy acc to vreg[176]
v_accvgpr_read_b32 v[vgprValuC+115], acc184 // copy acc to vreg[177]
v_accvgpr_read_b32 v[vgprValuC+117], acc169 // copy acc to vreg[178]
v_accvgpr_read_b32 v[vgprValuC+119], acc185 // copy acc to vreg[179]
v_accvgpr_read_b32 v[vgprValuC+121], acc170 // copy acc to vreg[180]
v_accvgpr_read_b32 v[vgprValuC+123], acc186 // copy acc to vreg[181]
v_accvgpr_read_b32 v[vgprValuC+125], acc171 // copy acc to vreg[182]
v_accvgpr_read_b32 v[vgprValuC+127], acc187 // copy acc to vreg[183]
v_accvgpr_read_b32 v[vgprValuC+129], acc172 // copy acc to vreg[184]
v_accvgpr_read_b32 v[vgprValuC+131], acc188 // copy acc to vreg[185]
v_accvgpr_read_b32 v[vgprValuC+133], acc173 // copy acc to vreg[186]
v_accvgpr_read_b32 v[vgprValuC+135], acc189 // copy acc to vreg[187]
v_accvgpr_read_b32 v[vgprValuC+137], acc174 // copy acc to vreg[188]
v_accvgpr_read_b32 v[vgprValuC+139], acc190 // copy acc to vreg[189]
v_accvgpr_read_b32 v[vgprValuC+141], acc175 // copy acc to vreg[190]
v_accvgpr_read_b32 v[vgprValuC+143], acc191 // copy acc to vreg[191]
v_accvgpr_read_b32 v[vgprValuC+145], acc192 // copy acc to vreg[192]
v_accvgpr_read_b32 v[vgprValuC+147], acc208 // copy acc to vreg[193]
v_accvgpr_read_b32 v[vgprValuC+149], acc193 // copy acc to vreg[194]
v_accvgpr_read_b32 v[vgprValuC+151], acc209 // copy acc to vreg[195]
v_accvgpr_read_b32 v[vgprValuC+153], acc194 // copy acc to vreg[196]
v_accvgpr_read_b32 v[vgprValuC+155], acc210 // copy acc to vreg[197]
v_accvgpr_read_b32 v[vgprValuC+157], acc195 // copy acc to vreg[198]
v_accvgpr_read_b32 v[vgprValuC+159], acc211 // copy acc to vreg[199]
v_accvgpr_read_b32 v[vgprValuC+161], acc196 // copy acc to vreg[200]
v_accvgpr_read_b32 v[vgprValuC+163], acc212 // copy acc to vreg[201]
v_accvgpr_read_b32 v[vgprValuC+165], acc197 // copy acc to vreg[202]
v_accvgpr_read_b32 v[vgprValuC+167], acc213 // copy acc to vreg[203]
v_accvgpr_read_b32 v[vgprValuC+169], acc198 // copy acc to vreg[204]
v_accvgpr_read_b32 v[vgprValuC+171], acc214 // copy acc to vreg[205]
v_accvgpr_read_b32 v[vgprValuC+173], acc199 // copy acc to vreg[206]
v_accvgpr_read_b32 v[vgprValuC+175], acc215 // copy acc to vreg[207]
v_accvgpr_read_b32 v[vgprValuC+177], acc200 // copy acc to vreg[208]
v_accvgpr_read_b32 v[vgprValuC+179], acc216 // copy acc to vreg[209]
v_accvgpr_read_b32 v[vgprValuC+181], acc201 // copy acc to vreg[210]
v_accvgpr_read_b32 v[vgprValuC+183], acc217 // copy acc to vreg[211]
v_accvgpr_read_b32 v[vgprValuC+185], acc202 // copy acc to vreg[212]
v_accvgpr_read_b32 v[vgprValuC+187], acc218 // copy acc to vreg[213]
v_accvgpr_read_b32 v[vgprValuC+189], acc203 // copy acc to vreg[214]
v_accvgpr_read_b32 v[vgprValuC+191], acc219 // copy acc to vreg[215]
v_accvgpr_read_b32 v[vgprValuC+193], acc204 // copy acc to vreg[216]
v_accvgpr_read_b32 v[vgprValuC+195], acc220 // copy acc to vreg[217]
v_accvgpr_read_b32 v[vgprValuC+200], acc205 // copy acc to vreg[218]
v_accvgpr_read_b32 v[vgprValuC+202], acc221 // copy acc to vreg[219]
v_accvgpr_read_b32 v[vgprValuC+204], acc206 // copy acc to vreg[220]
v_accvgpr_read_b32 v[vgprValuC+206], acc222 // copy acc to vreg[221]
v_accvgpr_read_b32 v[vgprValuC+208], acc207 // copy acc to vreg[222]
v_accvgpr_read_b32 v[vgprValuC+210], acc223 // copy acc to vreg[223]
v_accvgpr_read_b32 v[vgprValuC+212], acc224 // copy acc to vreg[224]
v_accvgpr_read_b32 v[vgprValuC+214], acc240 // copy acc to vreg[225]
v_accvgpr_read_b32 v[vgprValuC+216], acc225 // copy acc to vreg[226]
v_accvgpr_read_b32 v[vgprValuC+218], acc241 // copy acc to vreg[227]
v_accvgpr_read_b32 v[vgprValuC+220], acc226 // copy acc to vreg[228]
v_accvgpr_read_b32 v[vgprValuC+222], acc242 // copy acc to vreg[229]
v_accvgpr_read_b32 v[vgprValuC+224], acc227 // copy acc to vreg[230]
v_accvgpr_read_b32 v[vgprValuC+226], acc243 // copy acc to vreg[231]
v_accvgpr_read_b32 v[vgprValuC+228], acc228 // copy acc to vreg[232]
v_accvgpr_read_b32 v[vgprValuC+230], acc244 // copy acc to vreg[233]
v_accvgpr_read_b32 v[vgprValuC+232], acc229 // copy acc to vreg[234]
v_accvgpr_read_b32 v[vgprValuC+234], acc245 // copy acc to vreg[235]
v_accvgpr_read_b32 v[vgprValuC+236], acc230 // copy acc to vreg[236]
v_accvgpr_read_b32 v[vgprValuC+238], acc246 // copy acc to vreg[237]
v_accvgpr_read_b32 v[vgprValuC+240], acc231 // copy acc to vreg[238]
v_accvgpr_read_b32 v[vgprValuC+242], acc247 // copy acc to vreg[239]
v_accvgpr_read_b32 v[vgprValuC+244], acc232 // copy acc to vreg[240]
v_accvgpr_read_b32 v[vgprValuC+246], acc248 // copy acc to vreg[241]
v_accvgpr_read_b32 v[vgprValuC+248], acc233 // copy acc to vreg[242]
v_accvgpr_read_b32 v[vgprValuC+250], acc249 // copy acc to vreg[243]
v_accvgpr_read_b32 v[vgprValuC+252], acc234 // copy acc to vreg[244]
v_accvgpr_read_b32 v[vgprValuC+254], acc250 // copy acc to vreg[245]
s_nop 1                                            // 2 wait states required before reading vgpr

/* rC *= alpha batchElements=[(1, 7, 0, 3), (1, 7, 0, 4), (1, 7, 0, 5), (1, 7, 0, 6), (1, 7, 0, 7), (2, 0, 0, 0), (2, 0, 0, 1), (2, 0, 0, 2), (2, 0, 0, 3), (2, 0, 0, 4), (2, 0, 0, 5), (2, 0, 0, 6), (2, 0, 0, 7), (2, 1, 0, 0), (2, 1, 0, 1), (2, 1, 0, 2), (2, 1, 0, 3), (2, 1, 0, 4), (2, 1, 0, 5), (2, 1, 0, 6), (2, 1, 0, 7), (2, 2, 0, 0), (2, 2, 0, 1), (2, 2, 0, 2), (2, 2, 0, 3), (2, 2, 0, 4), (2, 2, 0, 5), (2, 2, 0, 6), (2, 2, 0, 7), (2, 3, 0, 0), (2, 3, 0, 1), (2, 3, 0, 2), (2, 3, 0, 3), (2, 3, 0, 4), (2, 3, 0, 5), (2, 3, 0, 6), (2, 3, 0, 7), (2, 4, 0, 0), (2, 4, 0, 1), (2, 4, 0, 2), (2, 4, 0, 3), (2, 4, 0, 4), (2, 4, 0, 5), (2, 4, 0, 6), (2, 4, 0, 7), (2, 5, 0, 0), (2, 5, 0, 1), (2, 5, 0, 2), (2, 5, 0, 3), (2, 5, 0, 4), (2, 5, 0, 5), (2, 5, 0, 6), (2, 5, 0, 7), (2, 6, 0, 0), (2, 6, 0, 1), (2, 6, 0, 2), (2, 6, 0, 3), (2, 6, 0, 4), (2, 6, 0, 5), (2, 6, 0, 6), (2, 6, 0, 7), (2, 7, 0, 0), (2, 7, 0, 1), (2, 7, 0, 2), (2, 7, 0, 3), (2, 7, 0, 4), (2, 7, 0, 5), (2, 7, 0, 6), (2, 7, 0, 7), (3, 0, 0, 0), (3, 0, 0, 1), (3, 0, 0, 2), (3, 0, 0, 3), (3, 0, 0, 4), (3, 0, 0, 5), (3, 0, 0, 6), (3, 0, 0, 7), (3, 1, 0, 0), (3, 1, 0, 1), (3, 1, 0, 2), (3, 1, 0, 3), (3, 1, 0, 4), (3, 1, 0, 5), (3, 1, 0, 6), (3, 1, 0, 7), (3, 2, 0, 0), (3, 2, 0, 1), (3, 2, 0, 2), (3, 2, 0, 3), (3, 2, 0, 4), (3, 2, 0, 5), (3, 2, 0, 6), (3, 2, 0, 7), (3, 3, 0, 0), (3, 3, 0, 1), (3, 3, 0, 2), (3, 3, 0, 3), (3, 3, 0, 4), (3, 3, 0, 5), (3, 3, 0, 6), (3, 3, 0, 7), (3, 4, 0, 0), (3, 4, 0, 1), (3, 4, 0, 2), (3, 4, 0, 3), (3, 4, 0, 4), (3, 4, 0, 5), (3, 4, 0, 6), (3, 4, 0, 7), (3, 5, 0, 0), (3, 5, 0, 1), (3, 5, 0, 2), (3, 5, 0, 3), (3, 5, 0, 4), (3, 5, 0, 5), (3, 5, 0, 6), (3, 5, 0, 7), (3, 6, 0, 0), (3, 6, 0, 1), (3, 6, 0, 2), (3, 6, 0, 3), (3, 6, 0, 4), (3, 6, 0, 5)] */
v_mul_f32 v[vgprValuC+7], s[sgprAlpha], v[vgprValuC+7] // *= alpha
v_mul_f32 v[vgprValuC+9], s[sgprAlpha], v[vgprValuC+9] // *= alpha
	;; [unrolled: 1-line block ×123, first 2 shown]

/* apply mask, calc new C and issue writes */
_buffer_store_b32 v7, v6, s[sgprSrdD:sgprSrdD+3], 0, offen, offset:0 // store D
_buffer_store_b32 v9, v8, s[sgprSrdD:sgprSrdD+3], 0, offen, offset:0 // store D
	;; [unrolled: 1-line block ×123, first 2 shown]
s_nop 0                                            // 1 wait state required when next inst writes vgprs held by previous dwordx4 store inst
/* optSingleColVgpr=0 optSharedColVgpr=0 optSGPRUsage=BufferLoad_Edge_Mask optSrdIncForRow=0 */

/******************************************/
/* Global Write Alpha Edge Batch #2 (d1,d0,vc1,vc0) = */
/*    (3,6,0,6:vw1); (3,6,0,7:vw1); (3,7,0,0:vw1); (3,7,0,1:vw1); (3,7,0,2:vw1); (3,7,0,3:vw1); (3,7,0,4:vw1); (3,7,0,5:vw1); (3,7,0,6:vw1); (3,7,0,7:vw1) */
/******************************************/

/* calc coords, apply mask, and issue loads (if necessary) */
/* (d1,vc1,d0,vc0)=(3,0,6,6) */
s_mov_b32 s52, 166                                 // coordOffset0 d0=6 vc0=6
_v_add_co_u32 v4, vcc, v0, s52                     // coord0.2: coord0 += d0*sg0*VW + vc0
v_cmp_lt_u32 s[52:53], v4, s[sgprSizeI]            // coord0 < size0
v_cmp_lt_u32 s[56:57], v1, s[sgprSizeJ]            // coord1 < size1
s_and_b64 s[56:57], s[52:53], s[56:57]             // in0 && in1
_v_add_lshl_u32 v6, v3, v4, 0x2                    // scaleToBpe: accumulate d0 lower and *= bpe into Cin addr
v_cndmask_b32 v6, -1, v6, s[56:57]                 // LDD clip if OOB. offset
/* (d1,vc1,d0,vc0)=(3,0,6,7) */
s_mov_b32 s52, 167                                 // coordOffset0 d0=6 vc0=7
_v_add_co_u32 v4, vcc, v0, s52                     // coord0.2: coord0 += d0*sg0*VW + vc0
v_cmp_lt_u32 s[52:53], v4, s[sgprSizeI]            // coord0 < size0
v_cmp_lt_u32 s[56:57], v1, s[sgprSizeJ]            // coord1 < size1
s_and_b64 s[56:57], s[52:53], s[56:57]             // in0 && in1
_v_add_lshl_u32 v8, v3, v4, 0x2                    // scaleToBpe: accumulate d0 lower and *= bpe into Cin addr
v_cndmask_b32 v8, -1, v8, s[56:57]                 // LDD clip if OOB. offset
/* (d1,vc1,d0,vc0)=(3,0,7,0) */
s_mov_b32 s52, 176                                 // coordOffset0 d0=7 vc0=0
_v_add_co_u32 v4, vcc, v0, s52                     // coord0.2: coord0 += d0*sg0*VW + vc0
v_cmp_lt_u32 s[52:53], v4, s[sgprSizeI]            // coord0 < size0
v_cmp_lt_u32 s[56:57], v1, s[sgprSizeJ]            // coord1 < size1
s_and_b64 s[56:57], s[52:53], s[56:57]             // in0 && in1
_v_add_lshl_u32 v10, v3, v4, 0x2                   // scaleToBpe: accumulate d0 lower and *= bpe into Cin addr
v_cndmask_b32 v10, -1, v10, s[56:57]               // LDD clip if OOB. offset
/* (d1,vc1,d0,vc0)=(3,0,7,1) */
s_mov_b32 s52, 177                                 // coordOffset0 d0=7 vc0=1
_v_add_co_u32 v4, vcc, v0, s52                     // coord0.2: coord0 += d0*sg0*VW + vc0
v_cmp_lt_u32 s[52:53], v4, s[sgprSizeI]            // coord0 < size0
v_cmp_lt_u32 s[56:57], v1, s[sgprSizeJ]            // coord1 < size1
s_and_b64 s[56:57], s[52:53], s[56:57]             // in0 && in1
_v_add_lshl_u32 v12, v3, v4, 0x2                   // scaleToBpe: accumulate d0 lower and *= bpe into Cin addr
v_cndmask_b32 v12, -1, v12, s[56:57]               // LDD clip if OOB. offset
	;; [unrolled: 8-line block ×8, first 2 shown]
v_accvgpr_read_b32 v[vgprValuC+7], acc235 // copy acc to vreg[246]
v_accvgpr_read_b32 v[vgprValuC+9], acc251 // copy acc to vreg[247]
v_accvgpr_read_b32 v[vgprValuC+11], acc236 // copy acc to vreg[248]
v_accvgpr_read_b32 v[vgprValuC+13], acc252 // copy acc to vreg[249]
v_accvgpr_read_b32 v[vgprValuC+15], acc237 // copy acc to vreg[250]
v_accvgpr_read_b32 v[vgprValuC+17], acc253 // copy acc to vreg[251]
v_accvgpr_read_b32 v[vgprValuC+19], acc238 // copy acc to vreg[252]
v_accvgpr_read_b32 v[vgprValuC+21], acc254 // copy acc to vreg[253]
v_accvgpr_read_b32 v[vgprValuC+23], acc239 // copy acc to vreg[254]
v_accvgpr_read_b32 v[vgprValuC+25], acc255 // copy acc to vreg[255]
s_nop 1                                            // 2 wait states required before reading vgpr

/* rC *= alpha batchElements=[(3, 6, 0, 6), (3, 6, 0, 7), (3, 7, 0, 0), (3, 7, 0, 1), (3, 7, 0, 2), (3, 7, 0, 3), (3, 7, 0, 4), (3, 7, 0, 5), (3, 7, 0, 6), (3, 7, 0, 7)] */
v_mul_f32 v[vgprValuC+7], s[sgprAlpha], v[vgprValuC+7] // *= alpha
v_mul_f32 v[vgprValuC+9], s[sgprAlpha], v[vgprValuC+9] // *= alpha
	;; [unrolled: 1-line block ×10, first 2 shown]

/* apply mask, calc new C and issue writes */
_buffer_store_b32 v7, v6, s[sgprSrdD:sgprSrdD+3], 0, offen, offset:0 // store D
_buffer_store_b32 v9, v8, s[sgprSrdD:sgprSrdD+3], 0, offen, offset:0 // store D
	;; [unrolled: 1-line block ×10, first 2 shown]
s_nop 0                                            // 1 wait state required when next inst writes vgprs held by previous dwordx4 store inst
s_branch label_GW_End_44                           // jump to end
GW_Beta_45:
s_and_b32 s32, 255, s[sgprSizeI]                   // s32 = s[sgprSizeI] % 256
s_add_u32 s33, -0x1, s[sgprNumWorkGroups0]         // 
s_cmp_ge_u32 s[sgprWorkGroup0], s33                // wg0 >= nwg0-1 ?
s_cselect_b32 s32, s32, 0                          // set rMT0
s_cmpk_gt_u32 s32, 0x0                             // rMT0 > 0
s_cbranch_scc1 GW_B1_E1_43                         // jump if edges required
s_and_b32 s32, 255, s[sgprSizeJ]                   // s32 = s[sgprSizeJ] % 256
s_add_u32 s33, -0x1, s[sgprNumWorkGroups1]         // 
s_cmp_ge_u32 s[sgprWorkGroup1], s33                // wg1 >= nwg1-1
s_cselect_b32 s32, s32, 0                          // set rMT1
s_cmpk_gt_u32 s32, 0x0                             // rMT1 > 0
s_cbranch_scc1 GW_B1_E1_43                         // jump if edges required
GW_B1_E0_40:

/* edge=0, allocate 2 sgpr. perBatchTmpS=2 perBatchMaskS=0 perElementMaskS=0 elementsPerBatch=30 */
/* optSingleColVgpr=1 optSharedColVgpr=0 optSGPRUsage=BufferLoad_Mask optSrdIncForRow=1 */

/******************************************/
/* Global Write Alpha Beta Batch #0 (d1,d0,vc1,vc0) = */
/*    (0,0,0,0:vw4); (0,0,0,4:vw4); (0,1,0,0:vw4); (0,1,0,4:vw4); (0,2,0,0:vw4); (0,2,0,4:vw4); (0,3,0,0:vw4); (0,3,0,4:vw4); (0,4,0,0:vw4); (0,4,0,4:vw4); (0,5,0,0:vw4); (0,5,0,4:vw4); (0,6,0,0:vw4); (0,6,0,4:vw4); (0,7,0,0:vw4); (0,7,0,4:vw4); (1,0,0,0:vw4); (1,0,0,4:vw4); (1,1,0,0:vw4); (1,1,0,4:vw4); (1,2,0,0:vw4); (1,2,0,4:vw4); (1,3,0,0:vw4); (1,3,0,4:vw4); (1,4,0,0:vw4); (1,4,0,4:vw4); (1,5,0,0:vw4); (1,5,0,4:vw4); (1,6,0,0:vw4); (1,6,0,4:vw4) */
/******************************************/

/* calc coords, apply mask, and issue loads (if necessary) */
/* (d1,vc1,d0,vc0)=(0,0,0,0) */
_v_add_lshl_u32 v7, v2, v0, 0x2                    // optSingleColVgpr scaleToBpe: sharedAddrVgpr <- cinRowPtr + coord0, scaled by BPE. BSHERE:coord0=0, coord0Vgpr=0
_buffer_load_b128 v[8:11], v7, s[sgprSrdC:sgprSrdC+3], 0, offen offset:0 // load C for beta calc
/* (d1,vc1,d0,vc0)=(0,0,0,4) */
_buffer_load_b128 v[16:19], v7, s[sgprSrdC:sgprSrdC+3], 0, offen offset:16 // load C for beta calc
/* (d1,vc1,d0,vc0)=(0,0,1,0) */
	;; [unrolled: 2-line block ×16, first 2 shown]
s_mul_i32 s32, s[sgprStrideC1J], 256               // scale StrideC *= numRows(64) * bpe
s_add_u32  s[sgprSrdC+0], s[sgprSrdC+0], s32       // incToNextRow: gra SRD += inc(lower)
s_addc_u32  s[sgprSrdC+1], s[sgprSrdC+1], 0        // incToNextRow: gra SRD += inc(upper)
_buffer_load_b128 v[136:139], v7, s[sgprSrdC:sgprSrdC+3], 0, offen offset:0 // load C for beta calc
/* (d1,vc1,d0,vc0)=(1,0,0,4) */
_buffer_load_b128 v[144:147], v7, s[sgprSrdC:sgprSrdC+3], 0, offen offset:16 // load C for beta calc
/* (d1,vc1,d0,vc0)=(1,0,1,0) */
	;; [unrolled: 2-line block ×13, first 2 shown]
_buffer_load_b128 v[244:247], v7, s[sgprSrdC:sgprSrdC+3], 0, offen offset:656 // load C for beta calc
_v_add_lshl_u32 v6, v3, v0, 0x2                    // optSingleColVgpr scaleToBpe: sharedAddrVgpr <- cinRowPtr + coord0, scaled by BPE. BSHERE:coord0=0, coord0Vgpr=0
v_accvgpr_read_b32 v[vgprValuC+12], acc0 // copy acc to vreg[0]
v_accvgpr_read_b32 v[vgprValuC+13], acc16 // copy acc to vreg[1]
v_accvgpr_read_b32 v[vgprValuC+14], acc1 // copy acc to vreg[2]
v_accvgpr_read_b32 v[vgprValuC+15], acc17 // copy acc to vreg[3]
v_accvgpr_read_b32 v[vgprValuC+20], acc2 // copy acc to vreg[4]
v_accvgpr_read_b32 v[vgprValuC+21], acc18 // copy acc to vreg[5]
v_accvgpr_read_b32 v[vgprValuC+22], acc3 // copy acc to vreg[6]
v_accvgpr_read_b32 v[vgprValuC+23], acc19 // copy acc to vreg[7]
v_accvgpr_read_b32 v[vgprValuC+28], acc4 // copy acc to vreg[8]
v_accvgpr_read_b32 v[vgprValuC+29], acc20 // copy acc to vreg[9]
v_accvgpr_read_b32 v[vgprValuC+30], acc5 // copy acc to vreg[10]
v_accvgpr_read_b32 v[vgprValuC+31], acc21 // copy acc to vreg[11]
v_accvgpr_read_b32 v[vgprValuC+36], acc6 // copy acc to vreg[12]
v_accvgpr_read_b32 v[vgprValuC+37], acc22 // copy acc to vreg[13]
v_accvgpr_read_b32 v[vgprValuC+38], acc7 // copy acc to vreg[14]
v_accvgpr_read_b32 v[vgprValuC+39], acc23 // copy acc to vreg[15]
v_accvgpr_read_b32 v[vgprValuC+44], acc8 // copy acc to vreg[16]
v_accvgpr_read_b32 v[vgprValuC+45], acc24 // copy acc to vreg[17]
v_accvgpr_read_b32 v[vgprValuC+46], acc9 // copy acc to vreg[18]
v_accvgpr_read_b32 v[vgprValuC+47], acc25 // copy acc to vreg[19]
v_accvgpr_read_b32 v[vgprValuC+52], acc10 // copy acc to vreg[20]
v_accvgpr_read_b32 v[vgprValuC+53], acc26 // copy acc to vreg[21]
v_accvgpr_read_b32 v[vgprValuC+54], acc11 // copy acc to vreg[22]
v_accvgpr_read_b32 v[vgprValuC+55], acc27 // copy acc to vreg[23]
v_accvgpr_read_b32 v[vgprValuC+60], acc12 // copy acc to vreg[24]
v_accvgpr_read_b32 v[vgprValuC+61], acc28 // copy acc to vreg[25]
v_accvgpr_read_b32 v[vgprValuC+62], acc13 // copy acc to vreg[26]
v_accvgpr_read_b32 v[vgprValuC+63], acc29 // copy acc to vreg[27]
v_accvgpr_read_b32 v[vgprValuC+68], acc14 // copy acc to vreg[28]
v_accvgpr_read_b32 v[vgprValuC+69], acc30 // copy acc to vreg[29]
v_accvgpr_read_b32 v[vgprValuC+70], acc15 // copy acc to vreg[30]
v_accvgpr_read_b32 v[vgprValuC+71], acc31 // copy acc to vreg[31]
v_accvgpr_read_b32 v[vgprValuC+76], acc32 // copy acc to vreg[32]
v_accvgpr_read_b32 v[vgprValuC+77], acc48 // copy acc to vreg[33]
v_accvgpr_read_b32 v[vgprValuC+78], acc33 // copy acc to vreg[34]
v_accvgpr_read_b32 v[vgprValuC+79], acc49 // copy acc to vreg[35]
v_accvgpr_read_b32 v[vgprValuC+84], acc34 // copy acc to vreg[36]
v_accvgpr_read_b32 v[vgprValuC+85], acc50 // copy acc to vreg[37]
v_accvgpr_read_b32 v[vgprValuC+86], acc35 // copy acc to vreg[38]
v_accvgpr_read_b32 v[vgprValuC+87], acc51 // copy acc to vreg[39]
v_accvgpr_read_b32 v[vgprValuC+92], acc36 // copy acc to vreg[40]
v_accvgpr_read_b32 v[vgprValuC+93], acc52 // copy acc to vreg[41]
v_accvgpr_read_b32 v[vgprValuC+94], acc37 // copy acc to vreg[42]
v_accvgpr_read_b32 v[vgprValuC+95], acc53 // copy acc to vreg[43]
v_accvgpr_read_b32 v[vgprValuC+100], acc38 // copy acc to vreg[44]
v_accvgpr_read_b32 v[vgprValuC+101], acc54 // copy acc to vreg[45]
v_accvgpr_read_b32 v[vgprValuC+102], acc39 // copy acc to vreg[46]
v_accvgpr_read_b32 v[vgprValuC+103], acc55 // copy acc to vreg[47]
v_accvgpr_read_b32 v[vgprValuC+108], acc40 // copy acc to vreg[48]
v_accvgpr_read_b32 v[vgprValuC+109], acc56 // copy acc to vreg[49]
v_accvgpr_read_b32 v[vgprValuC+110], acc41 // copy acc to vreg[50]
v_accvgpr_read_b32 v[vgprValuC+111], acc57 // copy acc to vreg[51]
v_accvgpr_read_b32 v[vgprValuC+116], acc42 // copy acc to vreg[52]
v_accvgpr_read_b32 v[vgprValuC+117], acc58 // copy acc to vreg[53]
v_accvgpr_read_b32 v[vgprValuC+118], acc43 // copy acc to vreg[54]
v_accvgpr_read_b32 v[vgprValuC+119], acc59 // copy acc to vreg[55]
v_accvgpr_read_b32 v[vgprValuC+124], acc44 // copy acc to vreg[56]
v_accvgpr_read_b32 v[vgprValuC+125], acc60 // copy acc to vreg[57]
v_accvgpr_read_b32 v[vgprValuC+126], acc45 // copy acc to vreg[58]
v_accvgpr_read_b32 v[vgprValuC+127], acc61 // copy acc to vreg[59]
v_accvgpr_read_b32 v[vgprValuC+132], acc46 // copy acc to vreg[60]
v_accvgpr_read_b32 v[vgprValuC+133], acc62 // copy acc to vreg[61]
v_accvgpr_read_b32 v[vgprValuC+134], acc47 // copy acc to vreg[62]
v_accvgpr_read_b32 v[vgprValuC+135], acc63 // copy acc to vreg[63]
v_accvgpr_read_b32 v[vgprValuC+140], acc64 // copy acc to vreg[64]
v_accvgpr_read_b32 v[vgprValuC+141], acc80 // copy acc to vreg[65]
v_accvgpr_read_b32 v[vgprValuC+142], acc65 // copy acc to vreg[66]
v_accvgpr_read_b32 v[vgprValuC+143], acc81 // copy acc to vreg[67]
v_accvgpr_read_b32 v[vgprValuC+148], acc66 // copy acc to vreg[68]
v_accvgpr_read_b32 v[vgprValuC+149], acc82 // copy acc to vreg[69]
v_accvgpr_read_b32 v[vgprValuC+150], acc67 // copy acc to vreg[70]
v_accvgpr_read_b32 v[vgprValuC+151], acc83 // copy acc to vreg[71]
v_accvgpr_read_b32 v[vgprValuC+156], acc68 // copy acc to vreg[72]
v_accvgpr_read_b32 v[vgprValuC+157], acc84 // copy acc to vreg[73]
v_accvgpr_read_b32 v[vgprValuC+158], acc69 // copy acc to vreg[74]
v_accvgpr_read_b32 v[vgprValuC+159], acc85 // copy acc to vreg[75]
v_accvgpr_read_b32 v[vgprValuC+164], acc70 // copy acc to vreg[76]
v_accvgpr_read_b32 v[vgprValuC+165], acc86 // copy acc to vreg[77]
v_accvgpr_read_b32 v[vgprValuC+166], acc71 // copy acc to vreg[78]
v_accvgpr_read_b32 v[vgprValuC+167], acc87 // copy acc to vreg[79]
v_accvgpr_read_b32 v[vgprValuC+172], acc72 // copy acc to vreg[80]
v_accvgpr_read_b32 v[vgprValuC+173], acc88 // copy acc to vreg[81]
v_accvgpr_read_b32 v[vgprValuC+174], acc73 // copy acc to vreg[82]
v_accvgpr_read_b32 v[vgprValuC+175], acc89 // copy acc to vreg[83]
v_accvgpr_read_b32 v[vgprValuC+180], acc74 // copy acc to vreg[84]
v_accvgpr_read_b32 v[vgprValuC+181], acc90 // copy acc to vreg[85]
v_accvgpr_read_b32 v[vgprValuC+182], acc75 // copy acc to vreg[86]
v_accvgpr_read_b32 v[vgprValuC+183], acc91 // copy acc to vreg[87]
v_accvgpr_read_b32 v[vgprValuC+188], acc76 // copy acc to vreg[88]
v_accvgpr_read_b32 v[vgprValuC+189], acc92 // copy acc to vreg[89]
v_accvgpr_read_b32 v[vgprValuC+190], acc77 // copy acc to vreg[90]
v_accvgpr_read_b32 v[vgprValuC+191], acc93 // copy acc to vreg[91]
v_accvgpr_read_b32 v[vgprValuC+200], acc78 // copy acc to vreg[92]
v_accvgpr_read_b32 v[vgprValuC+201], acc94 // copy acc to vreg[93]
v_accvgpr_read_b32 v[vgprValuC+202], acc79 // copy acc to vreg[94]
v_accvgpr_read_b32 v[vgprValuC+203], acc95 // copy acc to vreg[95]
v_accvgpr_read_b32 v[vgprValuC+208], acc96 // copy acc to vreg[96]
v_accvgpr_read_b32 v[vgprValuC+209], acc112 // copy acc to vreg[97]
v_accvgpr_read_b32 v[vgprValuC+210], acc97 // copy acc to vreg[98]
v_accvgpr_read_b32 v[vgprValuC+211], acc113 // copy acc to vreg[99]
v_accvgpr_read_b32 v[vgprValuC+216], acc98 // copy acc to vreg[100]
v_accvgpr_read_b32 v[vgprValuC+217], acc114 // copy acc to vreg[101]
v_accvgpr_read_b32 v[vgprValuC+218], acc99 // copy acc to vreg[102]
v_accvgpr_read_b32 v[vgprValuC+219], acc115 // copy acc to vreg[103]
v_accvgpr_read_b32 v[vgprValuC+224], acc100 // copy acc to vreg[104]
v_accvgpr_read_b32 v[vgprValuC+225], acc116 // copy acc to vreg[105]
v_accvgpr_read_b32 v[vgprValuC+226], acc101 // copy acc to vreg[106]
v_accvgpr_read_b32 v[vgprValuC+227], acc117 // copy acc to vreg[107]
v_accvgpr_read_b32 v[vgprValuC+232], acc102 // copy acc to vreg[108]
v_accvgpr_read_b32 v[vgprValuC+233], acc118 // copy acc to vreg[109]
v_accvgpr_read_b32 v[vgprValuC+234], acc103 // copy acc to vreg[110]
v_accvgpr_read_b32 v[vgprValuC+235], acc119 // copy acc to vreg[111]
v_accvgpr_read_b32 v[vgprValuC+240], acc104 // copy acc to vreg[112]
v_accvgpr_read_b32 v[vgprValuC+241], acc120 // copy acc to vreg[113]
v_accvgpr_read_b32 v[vgprValuC+242], acc105 // copy acc to vreg[114]
v_accvgpr_read_b32 v[vgprValuC+243], acc121 // copy acc to vreg[115]
v_accvgpr_read_b32 v[vgprValuC+248], acc106 // copy acc to vreg[116]
v_accvgpr_read_b32 v[vgprValuC+249], acc122 // copy acc to vreg[117]
v_accvgpr_read_b32 v[vgprValuC+250], acc107 // copy acc to vreg[118]
v_accvgpr_read_b32 v[vgprValuC+251], acc123 // copy acc to vreg[119]
s_nop 1                                            // 2 wait states required before reading vgpr

/* rC *= alpha batchElements=[(0, 0, 0, 0), (0, 0, 0, 4), (0, 1, 0, 0), (0, 1, 0, 4), (0, 2, 0, 0), (0, 2, 0, 4), (0, 3, 0, 0), (0, 3, 0, 4), (0, 4, 0, 0), (0, 4, 0, 4), (0, 5, 0, 0), (0, 5, 0, 4), (0, 6, 0, 0), (0, 6, 0, 4), (0, 7, 0, 0), (0, 7, 0, 4), (1, 0, 0, 0), (1, 0, 0, 4), (1, 1, 0, 0), (1, 1, 0, 4), (1, 2, 0, 0), (1, 2, 0, 4), (1, 3, 0, 0), (1, 3, 0, 4), (1, 4, 0, 0), (1, 4, 0, 4), (1, 5, 0, 0), (1, 5, 0, 4), (1, 6, 0, 0), (1, 6, 0, 4)] */
v_mul_f32 v[vgprValuC+12], s[sgprAlpha], v[vgprValuC+12] // *= alpha
v_mul_f32 v[vgprValuC+13], s[sgprAlpha], v[vgprValuC+13] // *= alpha
	;; [unrolled: 1-line block ×120, first 2 shown]

/* apply mask, calc new C and issue writes */

s_waitcnt vmcnt(29)                                // wait C (interleaved) 29 = 30 - 0 + 0 - 1
_v_mac_f32 v[vgprValuC+12], v8, s[sgprBeta]        // finalSum = sum*alpha + C*beta
_v_mac_f32 v[vgprValuC+13], v9, s[sgprBeta]        // finalSum = sum*alpha + C*beta
_v_mac_f32 v[vgprValuC+14], v10, s[sgprBeta]       // finalSum = sum*alpha + C*beta
_v_mac_f32 v[vgprValuC+15], v11, s[sgprBeta]       // finalSum = sum*alpha + C*beta
_buffer_store_b128 v[12:15], v6, s[sgprSrdD:sgprSrdD+3], 0, offen, offset:0 // store D

s_waitcnt vmcnt(29)                                // wait C (interleaved) 29 = 30 - 1 + 1 - 1
_v_mac_f32 v[vgprValuC+20], v16, s[sgprBeta]       // finalSum = sum*alpha + C*beta
_v_mac_f32 v[vgprValuC+21], v17, s[sgprBeta]       // finalSum = sum*alpha + C*beta
_v_mac_f32 v[vgprValuC+22], v18, s[sgprBeta]       // finalSum = sum*alpha + C*beta
_v_mac_f32 v[vgprValuC+23], v19, s[sgprBeta]       // finalSum = sum*alpha + C*beta
_buffer_store_b128 v[20:23], v6, s[sgprSrdD:sgprSrdD+3], 0, offen, offset:16 // store D

s_waitcnt vmcnt(29)                                // wait C (interleaved) 29 = 30 - 2 + 2 - 1
_v_mac_f32 v[vgprValuC+28], v24, s[sgprBeta]       // finalSum = sum*alpha + C*beta
_v_mac_f32 v[vgprValuC+29], v25, s[sgprBeta]       // finalSum = sum*alpha + C*beta
	;; [unrolled: 7-line block ×10, first 2 shown]
_v_mac_f32 v[vgprValuC+94], v90, s[sgprBeta]       // finalSum = sum*alpha + C*beta
_v_mac_f32 v[vgprValuC+95], v91, s[sgprBeta]       // finalSum = sum*alpha + C*beta
_buffer_store_b128 v[92:95], v6, s[sgprSrdD:sgprSrdD+3], 0, offen, offset:576 // store D

s_waitcnt vmcnt(29)                                // wait C (interleaved) 29 = 30 - 11 + 11 - 1
_v_mac_f32 v[vgprValuC+100], v96, s[sgprBeta]      // finalSum = sum*alpha + C*beta
_v_mac_f32 v[vgprValuC+101], v97, s[sgprBeta]      // finalSum = sum*alpha + C*beta
	;; [unrolled: 1-line block ×4, first 2 shown]
_buffer_store_b128 v[100:103], v6, s[sgprSrdD:sgprSrdD+3], 0, offen, offset:592 // store D

s_waitcnt vmcnt(29)                                // wait C (interleaved) 29 = 30 - 12 + 12 - 1
_v_mac_f32 v[vgprValuC+108], v104, s[sgprBeta]     // finalSum = sum*alpha + C*beta
_v_mac_f32 v[vgprValuC+109], v105, s[sgprBeta]     // finalSum = sum*alpha + C*beta
_v_mac_f32 v[vgprValuC+110], v106, s[sgprBeta]     // finalSum = sum*alpha + C*beta
_v_mac_f32 v[vgprValuC+111], v107, s[sgprBeta]     // finalSum = sum*alpha + C*beta
_buffer_store_b128 v[108:111], v6, s[sgprSrdD:sgprSrdD+3], 0, offen, offset:640 // store D

s_waitcnt vmcnt(29)                                // wait C (interleaved) 29 = 30 - 13 + 13 - 1
_v_mac_f32 v[vgprValuC+116], v112, s[sgprBeta]     // finalSum = sum*alpha + C*beta
_v_mac_f32 v[vgprValuC+117], v113, s[sgprBeta]     // finalSum = sum*alpha + C*beta
_v_mac_f32 v[vgprValuC+118], v114, s[sgprBeta]     // finalSum = sum*alpha + C*beta
_v_mac_f32 v[vgprValuC+119], v115, s[sgprBeta]     // finalSum = sum*alpha + C*beta
	;; [unrolled: 7-line block ×5, first 2 shown]
s_mul_i32 s32, s[sgprStrideD1J], 256               // scale StrideD *= numRows(64) * bpe
s_add_u32  s[sgprSrdD+0], s[sgprSrdD+0], s32       // incToNextRow: gra SRD += inc(lower)
s_addc_u32  s[sgprSrdD+1], s[sgprSrdD+1], 0        // incToNextRow: gra SRD += inc(upper)
_buffer_store_b128 v[140:143], v6, s[sgprSrdD:sgprSrdD+3], 0, offen, offset:0 // store D

s_waitcnt vmcnt(29)                                // wait C (interleaved) 29 = 30 - 17 + 17 - 1
_v_mac_f32 v[vgprValuC+148], v144, s[sgprBeta]     // finalSum = sum*alpha + C*beta
_v_mac_f32 v[vgprValuC+149], v145, s[sgprBeta]     // finalSum = sum*alpha + C*beta
_v_mac_f32 v[vgprValuC+150], v146, s[sgprBeta]     // finalSum = sum*alpha + C*beta
_v_mac_f32 v[vgprValuC+151], v147, s[sgprBeta]     // finalSum = sum*alpha + C*beta
_buffer_store_b128 v[148:151], v6, s[sgprSrdD:sgprSrdD+3], 0, offen, offset:16 // store D

s_waitcnt vmcnt(29)                                // wait C (interleaved) 29 = 30 - 18 + 18 - 1
_v_mac_f32 v[vgprValuC+156], v152, s[sgprBeta]     // finalSum = sum*alpha + C*beta
_v_mac_f32 v[vgprValuC+157], v153, s[sgprBeta]     // finalSum = sum*alpha + C*beta
_v_mac_f32 v[vgprValuC+158], v154, s[sgprBeta]     // finalSum = sum*alpha + C*beta
_v_mac_f32 v[vgprValuC+159], v155, s[sgprBeta]     // finalSum = sum*alpha + C*beta
	;; [unrolled: 7-line block ×13, first 2 shown]
_buffer_store_b128 v[248:251], v6, s[sgprSrdD:sgprSrdD+3], 0, offen, offset:656 // store D
s_nop 0                                            // 1 wait state required when next inst writes vgprs held by previous dwordx4 store inst
/* optSingleColVgpr=1 optSharedColVgpr=0 optSGPRUsage=BufferLoad_Mask optSrdIncForRow=1 */

/******************************************/
/* Global Write Alpha Beta Batch #1 (d1,d0,vc1,vc0) = */
/*    (1,7,0,0:vw4); (1,7,0,4:vw4); (2,0,0,0:vw4); (2,0,0,4:vw4); (2,1,0,0:vw4); (2,1,0,4:vw4); (2,2,0,0:vw4); (2,2,0,4:vw4); (2,3,0,0:vw4); (2,3,0,4:vw4); (2,4,0,0:vw4); (2,4,0,4:vw4); (2,5,0,0:vw4); (2,5,0,4:vw4); (2,6,0,0:vw4); (2,6,0,4:vw4); (2,7,0,0:vw4); (2,7,0,4:vw4); (3,0,0,0:vw4); (3,0,0,4:vw4); (3,1,0,0:vw4); (3,1,0,4:vw4); (3,2,0,0:vw4); (3,2,0,4:vw4); (3,3,0,0:vw4); (3,3,0,4:vw4); (3,4,0,0:vw4); (3,4,0,4:vw4); (3,5,0,0:vw4); (3,5,0,4:vw4) */
/******************************************/

/* calc coords, apply mask, and issue loads (if necessary) */
/* (d1,vc1,d0,vc0)=(1,0,7,0) */
_buffer_load_b128 v[8:11], v7, s[sgprSrdC:sgprSrdC+3], 0, offen offset:704 // load C for beta calc
/* (d1,vc1,d0,vc0)=(1,0,7,4) */
_buffer_load_b128 v[16:19], v7, s[sgprSrdC:sgprSrdC+3], 0, offen offset:720 // load C for beta calc
/* (d1,vc1,d0,vc0)=(2,0,0,0) */
s_mul_i32 s32, s[sgprStrideC1J], 256               // scale StrideC *= numRows(64) * bpe
s_add_u32  s[sgprSrdC+0], s[sgprSrdC+0], s32       // incToNextRow: gra SRD += inc(lower)
s_addc_u32  s[sgprSrdC+1], s[sgprSrdC+1], 0        // incToNextRow: gra SRD += inc(upper)
_buffer_load_b128 v[24:27], v7, s[sgprSrdC:sgprSrdC+3], 0, offen offset:0 // load C for beta calc
/* (d1,vc1,d0,vc0)=(2,0,0,4) */
_buffer_load_b128 v[32:35], v7, s[sgprSrdC:sgprSrdC+3], 0, offen offset:16 // load C for beta calc
/* (d1,vc1,d0,vc0)=(2,0,1,0) */
	;; [unrolled: 2-line block ×16, first 2 shown]
s_mul_i32 s32, s[sgprStrideC1J], 256               // scale StrideC *= numRows(64) * bpe
s_add_u32  s[sgprSrdC+0], s[sgprSrdC+0], s32       // incToNextRow: gra SRD += inc(lower)
s_addc_u32  s[sgprSrdC+1], s[sgprSrdC+1], 0        // incToNextRow: gra SRD += inc(upper)
_buffer_load_b128 v[152:155], v7, s[sgprSrdC:sgprSrdC+3], 0, offen offset:0 // load C for beta calc
/* (d1,vc1,d0,vc0)=(3,0,0,4) */
_buffer_load_b128 v[160:163], v7, s[sgprSrdC:sgprSrdC+3], 0, offen offset:16 // load C for beta calc
/* (d1,vc1,d0,vc0)=(3,0,1,0) */
	;; [unrolled: 2-line block ×11, first 2 shown]
_buffer_load_b128 v[244:247], v7, s[sgprSrdC:sgprSrdC+3], 0, offen offset:592 // load C for beta calc
v_accvgpr_read_b32 v[vgprValuC+12], acc108 // copy acc to vreg[120]
v_accvgpr_read_b32 v[vgprValuC+13], acc124 // copy acc to vreg[121]
v_accvgpr_read_b32 v[vgprValuC+14], acc109 // copy acc to vreg[122]
v_accvgpr_read_b32 v[vgprValuC+15], acc125 // copy acc to vreg[123]
v_accvgpr_read_b32 v[vgprValuC+20], acc110 // copy acc to vreg[124]
v_accvgpr_read_b32 v[vgprValuC+21], acc126 // copy acc to vreg[125]
v_accvgpr_read_b32 v[vgprValuC+22], acc111 // copy acc to vreg[126]
v_accvgpr_read_b32 v[vgprValuC+23], acc127 // copy acc to vreg[127]
v_accvgpr_read_b32 v[vgprValuC+28], acc128 // copy acc to vreg[128]
v_accvgpr_read_b32 v[vgprValuC+29], acc144 // copy acc to vreg[129]
v_accvgpr_read_b32 v[vgprValuC+30], acc129 // copy acc to vreg[130]
v_accvgpr_read_b32 v[vgprValuC+31], acc145 // copy acc to vreg[131]
v_accvgpr_read_b32 v[vgprValuC+36], acc130 // copy acc to vreg[132]
v_accvgpr_read_b32 v[vgprValuC+37], acc146 // copy acc to vreg[133]
v_accvgpr_read_b32 v[vgprValuC+38], acc131 // copy acc to vreg[134]
v_accvgpr_read_b32 v[vgprValuC+39], acc147 // copy acc to vreg[135]
v_accvgpr_read_b32 v[vgprValuC+44], acc132 // copy acc to vreg[136]
v_accvgpr_read_b32 v[vgprValuC+45], acc148 // copy acc to vreg[137]
v_accvgpr_read_b32 v[vgprValuC+46], acc133 // copy acc to vreg[138]
v_accvgpr_read_b32 v[vgprValuC+47], acc149 // copy acc to vreg[139]
v_accvgpr_read_b32 v[vgprValuC+52], acc134 // copy acc to vreg[140]
v_accvgpr_read_b32 v[vgprValuC+53], acc150 // copy acc to vreg[141]
v_accvgpr_read_b32 v[vgprValuC+54], acc135 // copy acc to vreg[142]
v_accvgpr_read_b32 v[vgprValuC+55], acc151 // copy acc to vreg[143]
v_accvgpr_read_b32 v[vgprValuC+60], acc136 // copy acc to vreg[144]
v_accvgpr_read_b32 v[vgprValuC+61], acc152 // copy acc to vreg[145]
v_accvgpr_read_b32 v[vgprValuC+62], acc137 // copy acc to vreg[146]
v_accvgpr_read_b32 v[vgprValuC+63], acc153 // copy acc to vreg[147]
v_accvgpr_read_b32 v[vgprValuC+68], acc138 // copy acc to vreg[148]
v_accvgpr_read_b32 v[vgprValuC+69], acc154 // copy acc to vreg[149]
v_accvgpr_read_b32 v[vgprValuC+70], acc139 // copy acc to vreg[150]
v_accvgpr_read_b32 v[vgprValuC+71], acc155 // copy acc to vreg[151]
v_accvgpr_read_b32 v[vgprValuC+76], acc140 // copy acc to vreg[152]
v_accvgpr_read_b32 v[vgprValuC+77], acc156 // copy acc to vreg[153]
v_accvgpr_read_b32 v[vgprValuC+78], acc141 // copy acc to vreg[154]
v_accvgpr_read_b32 v[vgprValuC+79], acc157 // copy acc to vreg[155]
v_accvgpr_read_b32 v[vgprValuC+84], acc142 // copy acc to vreg[156]
v_accvgpr_read_b32 v[vgprValuC+85], acc158 // copy acc to vreg[157]
v_accvgpr_read_b32 v[vgprValuC+86], acc143 // copy acc to vreg[158]
v_accvgpr_read_b32 v[vgprValuC+87], acc159 // copy acc to vreg[159]
v_accvgpr_read_b32 v[vgprValuC+92], acc160 // copy acc to vreg[160]
v_accvgpr_read_b32 v[vgprValuC+93], acc176 // copy acc to vreg[161]
v_accvgpr_read_b32 v[vgprValuC+94], acc161 // copy acc to vreg[162]
v_accvgpr_read_b32 v[vgprValuC+95], acc177 // copy acc to vreg[163]
v_accvgpr_read_b32 v[vgprValuC+100], acc162 // copy acc to vreg[164]
v_accvgpr_read_b32 v[vgprValuC+101], acc178 // copy acc to vreg[165]
v_accvgpr_read_b32 v[vgprValuC+102], acc163 // copy acc to vreg[166]
v_accvgpr_read_b32 v[vgprValuC+103], acc179 // copy acc to vreg[167]
v_accvgpr_read_b32 v[vgprValuC+108], acc164 // copy acc to vreg[168]
v_accvgpr_read_b32 v[vgprValuC+109], acc180 // copy acc to vreg[169]
v_accvgpr_read_b32 v[vgprValuC+110], acc165 // copy acc to vreg[170]
v_accvgpr_read_b32 v[vgprValuC+111], acc181 // copy acc to vreg[171]
v_accvgpr_read_b32 v[vgprValuC+116], acc166 // copy acc to vreg[172]
v_accvgpr_read_b32 v[vgprValuC+117], acc182 // copy acc to vreg[173]
v_accvgpr_read_b32 v[vgprValuC+118], acc167 // copy acc to vreg[174]
v_accvgpr_read_b32 v[vgprValuC+119], acc183 // copy acc to vreg[175]
v_accvgpr_read_b32 v[vgprValuC+124], acc168 // copy acc to vreg[176]
v_accvgpr_read_b32 v[vgprValuC+125], acc184 // copy acc to vreg[177]
v_accvgpr_read_b32 v[vgprValuC+126], acc169 // copy acc to vreg[178]
v_accvgpr_read_b32 v[vgprValuC+127], acc185 // copy acc to vreg[179]
v_accvgpr_read_b32 v[vgprValuC+132], acc170 // copy acc to vreg[180]
v_accvgpr_read_b32 v[vgprValuC+133], acc186 // copy acc to vreg[181]
v_accvgpr_read_b32 v[vgprValuC+134], acc171 // copy acc to vreg[182]
v_accvgpr_read_b32 v[vgprValuC+135], acc187 // copy acc to vreg[183]
v_accvgpr_read_b32 v[vgprValuC+140], acc172 // copy acc to vreg[184]
v_accvgpr_read_b32 v[vgprValuC+141], acc188 // copy acc to vreg[185]
v_accvgpr_read_b32 v[vgprValuC+142], acc173 // copy acc to vreg[186]
v_accvgpr_read_b32 v[vgprValuC+143], acc189 // copy acc to vreg[187]
v_accvgpr_read_b32 v[vgprValuC+148], acc174 // copy acc to vreg[188]
v_accvgpr_read_b32 v[vgprValuC+149], acc190 // copy acc to vreg[189]
v_accvgpr_read_b32 v[vgprValuC+150], acc175 // copy acc to vreg[190]
v_accvgpr_read_b32 v[vgprValuC+151], acc191 // copy acc to vreg[191]
v_accvgpr_read_b32 v[vgprValuC+156], acc192 // copy acc to vreg[192]
v_accvgpr_read_b32 v[vgprValuC+157], acc208 // copy acc to vreg[193]
v_accvgpr_read_b32 v[vgprValuC+158], acc193 // copy acc to vreg[194]
v_accvgpr_read_b32 v[vgprValuC+159], acc209 // copy acc to vreg[195]
v_accvgpr_read_b32 v[vgprValuC+164], acc194 // copy acc to vreg[196]
v_accvgpr_read_b32 v[vgprValuC+165], acc210 // copy acc to vreg[197]
v_accvgpr_read_b32 v[vgprValuC+166], acc195 // copy acc to vreg[198]
v_accvgpr_read_b32 v[vgprValuC+167], acc211 // copy acc to vreg[199]
v_accvgpr_read_b32 v[vgprValuC+172], acc196 // copy acc to vreg[200]
v_accvgpr_read_b32 v[vgprValuC+173], acc212 // copy acc to vreg[201]
v_accvgpr_read_b32 v[vgprValuC+174], acc197 // copy acc to vreg[202]
v_accvgpr_read_b32 v[vgprValuC+175], acc213 // copy acc to vreg[203]
v_accvgpr_read_b32 v[vgprValuC+180], acc198 // copy acc to vreg[204]
v_accvgpr_read_b32 v[vgprValuC+181], acc214 // copy acc to vreg[205]
v_accvgpr_read_b32 v[vgprValuC+182], acc199 // copy acc to vreg[206]
v_accvgpr_read_b32 v[vgprValuC+183], acc215 // copy acc to vreg[207]
v_accvgpr_read_b32 v[vgprValuC+188], acc200 // copy acc to vreg[208]
v_accvgpr_read_b32 v[vgprValuC+189], acc216 // copy acc to vreg[209]
v_accvgpr_read_b32 v[vgprValuC+190], acc201 // copy acc to vreg[210]
v_accvgpr_read_b32 v[vgprValuC+191], acc217 // copy acc to vreg[211]
v_accvgpr_read_b32 v[vgprValuC+200], acc202 // copy acc to vreg[212]
v_accvgpr_read_b32 v[vgprValuC+201], acc218 // copy acc to vreg[213]
v_accvgpr_read_b32 v[vgprValuC+202], acc203 // copy acc to vreg[214]
v_accvgpr_read_b32 v[vgprValuC+203], acc219 // copy acc to vreg[215]
v_accvgpr_read_b32 v[vgprValuC+208], acc204 // copy acc to vreg[216]
v_accvgpr_read_b32 v[vgprValuC+209], acc220 // copy acc to vreg[217]
v_accvgpr_read_b32 v[vgprValuC+210], acc205 // copy acc to vreg[218]
v_accvgpr_read_b32 v[vgprValuC+211], acc221 // copy acc to vreg[219]
v_accvgpr_read_b32 v[vgprValuC+216], acc206 // copy acc to vreg[220]
v_accvgpr_read_b32 v[vgprValuC+217], acc222 // copy acc to vreg[221]
v_accvgpr_read_b32 v[vgprValuC+218], acc207 // copy acc to vreg[222]
v_accvgpr_read_b32 v[vgprValuC+219], acc223 // copy acc to vreg[223]
v_accvgpr_read_b32 v[vgprValuC+224], acc224 // copy acc to vreg[224]
v_accvgpr_read_b32 v[vgprValuC+225], acc240 // copy acc to vreg[225]
v_accvgpr_read_b32 v[vgprValuC+226], acc225 // copy acc to vreg[226]
v_accvgpr_read_b32 v[vgprValuC+227], acc241 // copy acc to vreg[227]
v_accvgpr_read_b32 v[vgprValuC+232], acc226 // copy acc to vreg[228]
v_accvgpr_read_b32 v[vgprValuC+233], acc242 // copy acc to vreg[229]
v_accvgpr_read_b32 v[vgprValuC+234], acc227 // copy acc to vreg[230]
v_accvgpr_read_b32 v[vgprValuC+235], acc243 // copy acc to vreg[231]
v_accvgpr_read_b32 v[vgprValuC+240], acc228 // copy acc to vreg[232]
v_accvgpr_read_b32 v[vgprValuC+241], acc244 // copy acc to vreg[233]
v_accvgpr_read_b32 v[vgprValuC+242], acc229 // copy acc to vreg[234]
v_accvgpr_read_b32 v[vgprValuC+243], acc245 // copy acc to vreg[235]
v_accvgpr_read_b32 v[vgprValuC+248], acc230 // copy acc to vreg[236]
v_accvgpr_read_b32 v[vgprValuC+249], acc246 // copy acc to vreg[237]
v_accvgpr_read_b32 v[vgprValuC+250], acc231 // copy acc to vreg[238]
v_accvgpr_read_b32 v[vgprValuC+251], acc247 // copy acc to vreg[239]
s_nop 1                                            // 2 wait states required before reading vgpr

/* rC *= alpha batchElements=[(1, 7, 0, 0), (1, 7, 0, 4), (2, 0, 0, 0), (2, 0, 0, 4), (2, 1, 0, 0), (2, 1, 0, 4), (2, 2, 0, 0), (2, 2, 0, 4), (2, 3, 0, 0), (2, 3, 0, 4), (2, 4, 0, 0), (2, 4, 0, 4), (2, 5, 0, 0), (2, 5, 0, 4), (2, 6, 0, 0), (2, 6, 0, 4), (2, 7, 0, 0), (2, 7, 0, 4), (3, 0, 0, 0), (3, 0, 0, 4), (3, 1, 0, 0), (3, 1, 0, 4), (3, 2, 0, 0), (3, 2, 0, 4), (3, 3, 0, 0), (3, 3, 0, 4), (3, 4, 0, 0), (3, 4, 0, 4), (3, 5, 0, 0), (3, 5, 0, 4)] */
v_mul_f32 v[vgprValuC+12], s[sgprAlpha], v[vgprValuC+12] // *= alpha
v_mul_f32 v[vgprValuC+13], s[sgprAlpha], v[vgprValuC+13] // *= alpha
	;; [unrolled: 1-line block ×120, first 2 shown]

/* apply mask, calc new C and issue writes */

s_waitcnt vmcnt(29)                                // wait C (interleaved) 29 = 30 - 0 + 0 - 1
_v_mac_f32 v[vgprValuC+12], v8, s[sgprBeta]        // finalSum = sum*alpha + C*beta
_v_mac_f32 v[vgprValuC+13], v9, s[sgprBeta]        // finalSum = sum*alpha + C*beta
_v_mac_f32 v[vgprValuC+14], v10, s[sgprBeta]       // finalSum = sum*alpha + C*beta
_v_mac_f32 v[vgprValuC+15], v11, s[sgprBeta]       // finalSum = sum*alpha + C*beta
_buffer_store_b128 v[12:15], v6, s[sgprSrdD:sgprSrdD+3], 0, offen, offset:704 // store D

s_waitcnt vmcnt(29)                                // wait C (interleaved) 29 = 30 - 1 + 1 - 1
_v_mac_f32 v[vgprValuC+20], v16, s[sgprBeta]       // finalSum = sum*alpha + C*beta
_v_mac_f32 v[vgprValuC+21], v17, s[sgprBeta]       // finalSum = sum*alpha + C*beta
	;; [unrolled: 1-line block ×4, first 2 shown]
_buffer_store_b128 v[20:23], v6, s[sgprSrdD:sgprSrdD+3], 0, offen, offset:720 // store D

s_waitcnt vmcnt(29)                                // wait C (interleaved) 29 = 30 - 2 + 2 - 1
_v_mac_f32 v[vgprValuC+28], v24, s[sgprBeta]       // finalSum = sum*alpha + C*beta
_v_mac_f32 v[vgprValuC+29], v25, s[sgprBeta]       // finalSum = sum*alpha + C*beta
	;; [unrolled: 1-line block ×4, first 2 shown]
s_mul_i32 s32, s[sgprStrideD1J], 256               // scale StrideD *= numRows(64) * bpe
s_add_u32  s[sgprSrdD+0], s[sgprSrdD+0], s32       // incToNextRow: gra SRD += inc(lower)
s_addc_u32  s[sgprSrdD+1], s[sgprSrdD+1], 0        // incToNextRow: gra SRD += inc(upper)
_buffer_store_b128 v[28:31], v6, s[sgprSrdD:sgprSrdD+3], 0, offen, offset:0 // store D

s_waitcnt vmcnt(29)                                // wait C (interleaved) 29 = 30 - 3 + 3 - 1
_v_mac_f32 v[vgprValuC+36], v32, s[sgprBeta]       // finalSum = sum*alpha + C*beta
_v_mac_f32 v[vgprValuC+37], v33, s[sgprBeta]       // finalSum = sum*alpha + C*beta
_v_mac_f32 v[vgprValuC+38], v34, s[sgprBeta]       // finalSum = sum*alpha + C*beta
_v_mac_f32 v[vgprValuC+39], v35, s[sgprBeta]       // finalSum = sum*alpha + C*beta
_buffer_store_b128 v[36:39], v6, s[sgprSrdD:sgprSrdD+3], 0, offen, offset:16 // store D

s_waitcnt vmcnt(29)                                // wait C (interleaved) 29 = 30 - 4 + 4 - 1
_v_mac_f32 v[vgprValuC+44], v40, s[sgprBeta]       // finalSum = sum*alpha + C*beta
_v_mac_f32 v[vgprValuC+45], v41, s[sgprBeta]       // finalSum = sum*alpha + C*beta
_v_mac_f32 v[vgprValuC+46], v42, s[sgprBeta]       // finalSum = sum*alpha + C*beta
_v_mac_f32 v[vgprValuC+47], v43, s[sgprBeta]       // finalSum = sum*alpha + C*beta
	;; [unrolled: 7-line block ×8, first 2 shown]
_buffer_store_b128 v[92:95], v6, s[sgprSrdD:sgprSrdD+3], 0, offen, offset:512 // store D

s_waitcnt vmcnt(29)                                // wait C (interleaved) 29 = 30 - 11 + 11 - 1
_v_mac_f32 v[vgprValuC+100], v96, s[sgprBeta]      // finalSum = sum*alpha + C*beta
_v_mac_f32 v[vgprValuC+101], v97, s[sgprBeta]      // finalSum = sum*alpha + C*beta
	;; [unrolled: 1-line block ×4, first 2 shown]
_buffer_store_b128 v[100:103], v6, s[sgprSrdD:sgprSrdD+3], 0, offen, offset:528 // store D

s_waitcnt vmcnt(29)                                // wait C (interleaved) 29 = 30 - 12 + 12 - 1
_v_mac_f32 v[vgprValuC+108], v104, s[sgprBeta]     // finalSum = sum*alpha + C*beta
_v_mac_f32 v[vgprValuC+109], v105, s[sgprBeta]     // finalSum = sum*alpha + C*beta
_v_mac_f32 v[vgprValuC+110], v106, s[sgprBeta]     // finalSum = sum*alpha + C*beta
_v_mac_f32 v[vgprValuC+111], v107, s[sgprBeta]     // finalSum = sum*alpha + C*beta
_buffer_store_b128 v[108:111], v6, s[sgprSrdD:sgprSrdD+3], 0, offen, offset:576 // store D

s_waitcnt vmcnt(29)                                // wait C (interleaved) 29 = 30 - 13 + 13 - 1
_v_mac_f32 v[vgprValuC+116], v112, s[sgprBeta]     // finalSum = sum*alpha + C*beta
_v_mac_f32 v[vgprValuC+117], v113, s[sgprBeta]     // finalSum = sum*alpha + C*beta
_v_mac_f32 v[vgprValuC+118], v114, s[sgprBeta]     // finalSum = sum*alpha + C*beta
_v_mac_f32 v[vgprValuC+119], v115, s[sgprBeta]     // finalSum = sum*alpha + C*beta
	;; [unrolled: 7-line block ×7, first 2 shown]
s_mul_i32 s32, s[sgprStrideD1J], 256               // scale StrideD *= numRows(64) * bpe
s_add_u32  s[sgprSrdD+0], s[sgprSrdD+0], s32       // incToNextRow: gra SRD += inc(lower)
s_addc_u32  s[sgprSrdD+1], s[sgprSrdD+1], 0        // incToNextRow: gra SRD += inc(upper)
_buffer_store_b128 v[156:159], v6, s[sgprSrdD:sgprSrdD+3], 0, offen, offset:0 // store D

s_waitcnt vmcnt(29)                                // wait C (interleaved) 29 = 30 - 19 + 19 - 1
_v_mac_f32 v[vgprValuC+164], v160, s[sgprBeta]     // finalSum = sum*alpha + C*beta
_v_mac_f32 v[vgprValuC+165], v161, s[sgprBeta]     // finalSum = sum*alpha + C*beta
_v_mac_f32 v[vgprValuC+166], v162, s[sgprBeta]     // finalSum = sum*alpha + C*beta
_v_mac_f32 v[vgprValuC+167], v163, s[sgprBeta]     // finalSum = sum*alpha + C*beta
_buffer_store_b128 v[164:167], v6, s[sgprSrdD:sgprSrdD+3], 0, offen, offset:16 // store D

s_waitcnt vmcnt(29)                                // wait C (interleaved) 29 = 30 - 20 + 20 - 1
_v_mac_f32 v[vgprValuC+172], v168, s[sgprBeta]     // finalSum = sum*alpha + C*beta
_v_mac_f32 v[vgprValuC+173], v169, s[sgprBeta]     // finalSum = sum*alpha + C*beta
_v_mac_f32 v[vgprValuC+174], v170, s[sgprBeta]     // finalSum = sum*alpha + C*beta
_v_mac_f32 v[vgprValuC+175], v171, s[sgprBeta]     // finalSum = sum*alpha + C*beta
	;; [unrolled: 7-line block ×11, first 2 shown]
_buffer_store_b128 v[248:251], v6, s[sgprSrdD:sgprSrdD+3], 0, offen, offset:592 // store D
s_nop 0                                            // 1 wait state required when next inst writes vgprs held by previous dwordx4 store inst
/* optSingleColVgpr=1 optSharedColVgpr=0 optSGPRUsage=BufferLoad_Mask optSrdIncForRow=1 */

/******************************************/
/* Global Write Alpha Beta Batch #2 (d1,d0,vc1,vc0) = */
/*    (3,6,0,0:vw4); (3,6,0,4:vw4); (3,7,0,0:vw4); (3,7,0,4:vw4) */
/******************************************/

/* calc coords, apply mask, and issue loads (if necessary) */
/* (d1,vc1,d0,vc0)=(3,0,6,0) */
_buffer_load_b128 v[8:11], v7, s[sgprSrdC:sgprSrdC+3], 0, offen offset:640 // load C for beta calc
/* (d1,vc1,d0,vc0)=(3,0,6,4) */
_buffer_load_b128 v[16:19], v7, s[sgprSrdC:sgprSrdC+3], 0, offen offset:656 // load C for beta calc
/* (d1,vc1,d0,vc0)=(3,0,7,0) */
_buffer_load_b128 v[24:27], v7, s[sgprSrdC:sgprSrdC+3], 0, offen offset:704 // load C for beta calc
/* (d1,vc1,d0,vc0)=(3,0,7,4) */
_buffer_load_b128 v[32:35], v7, s[sgprSrdC:sgprSrdC+3], 0, offen offset:720 // load C for beta calc
v_accvgpr_read_b32 v[vgprValuC+12], acc232 // copy acc to vreg[240]
v_accvgpr_read_b32 v[vgprValuC+13], acc248 // copy acc to vreg[241]
v_accvgpr_read_b32 v[vgprValuC+14], acc233 // copy acc to vreg[242]
v_accvgpr_read_b32 v[vgprValuC+15], acc249 // copy acc to vreg[243]
v_accvgpr_read_b32 v[vgprValuC+20], acc234 // copy acc to vreg[244]
v_accvgpr_read_b32 v[vgprValuC+21], acc250 // copy acc to vreg[245]
v_accvgpr_read_b32 v[vgprValuC+22], acc235 // copy acc to vreg[246]
v_accvgpr_read_b32 v[vgprValuC+23], acc251 // copy acc to vreg[247]
v_accvgpr_read_b32 v[vgprValuC+28], acc236 // copy acc to vreg[248]
v_accvgpr_read_b32 v[vgprValuC+29], acc252 // copy acc to vreg[249]
v_accvgpr_read_b32 v[vgprValuC+30], acc237 // copy acc to vreg[250]
v_accvgpr_read_b32 v[vgprValuC+31], acc253 // copy acc to vreg[251]
v_accvgpr_read_b32 v[vgprValuC+36], acc238 // copy acc to vreg[252]
v_accvgpr_read_b32 v[vgprValuC+37], acc254 // copy acc to vreg[253]
v_accvgpr_read_b32 v[vgprValuC+38], acc239 // copy acc to vreg[254]
v_accvgpr_read_b32 v[vgprValuC+39], acc255 // copy acc to vreg[255]
s_nop 1                                            // 2 wait states required before reading vgpr

/* rC *= alpha batchElements=[(3, 6, 0, 0), (3, 6, 0, 4), (3, 7, 0, 0), (3, 7, 0, 4)] */
v_mul_f32 v[vgprValuC+12], s[sgprAlpha], v[vgprValuC+12] // *= alpha
v_mul_f32 v[vgprValuC+13], s[sgprAlpha], v[vgprValuC+13] // *= alpha
	;; [unrolled: 1-line block ×16, first 2 shown]

/* apply mask, calc new C and issue writes */

s_waitcnt vmcnt(3)                                 // wait C (interleaved) 3 = 4 - 0 + 0 - 1
_v_mac_f32 v[vgprValuC+12], v8, s[sgprBeta]        // finalSum = sum*alpha + C*beta
_v_mac_f32 v[vgprValuC+13], v9, s[sgprBeta]        // finalSum = sum*alpha + C*beta
_v_mac_f32 v[vgprValuC+14], v10, s[sgprBeta]       // finalSum = sum*alpha + C*beta
_v_mac_f32 v[vgprValuC+15], v11, s[sgprBeta]       // finalSum = sum*alpha + C*beta
_buffer_store_b128 v[12:15], v6, s[sgprSrdD:sgprSrdD+3], 0, offen, offset:640 // store D

s_waitcnt vmcnt(3)                                 // wait C (interleaved) 3 = 4 - 1 + 1 - 1
_v_mac_f32 v[vgprValuC+20], v16, s[sgprBeta]       // finalSum = sum*alpha + C*beta
_v_mac_f32 v[vgprValuC+21], v17, s[sgprBeta]       // finalSum = sum*alpha + C*beta
_v_mac_f32 v[vgprValuC+22], v18, s[sgprBeta]       // finalSum = sum*alpha + C*beta
_v_mac_f32 v[vgprValuC+23], v19, s[sgprBeta]       // finalSum = sum*alpha + C*beta
_buffer_store_b128 v[20:23], v6, s[sgprSrdD:sgprSrdD+3], 0, offen, offset:656 // store D

s_waitcnt vmcnt(3)                                 // wait C (interleaved) 3 = 4 - 2 + 2 - 1
_v_mac_f32 v[vgprValuC+28], v24, s[sgprBeta]       // finalSum = sum*alpha + C*beta
_v_mac_f32 v[vgprValuC+29], v25, s[sgprBeta]       // finalSum = sum*alpha + C*beta
	;; [unrolled: 7-line block ×3, first 2 shown]
_v_mac_f32 v[vgprValuC+38], v34, s[sgprBeta]       // finalSum = sum*alpha + C*beta
_v_mac_f32 v[vgprValuC+39], v35, s[sgprBeta]       // finalSum = sum*alpha + C*beta
_buffer_store_b128 v[36:39], v6, s[sgprSrdD:sgprSrdD+3], 0, offen, offset:720 // store D
s_nop 0                                            // 1 wait state required when next inst writes vgprs held by previous dwordx4 store inst
s_branch label_GW_End_44                           // jump to end
GW_B1_E1_43:

/* edge=1, allocate 6 sgpr. perBatchTmpS=4 perBatchMaskS=2 perElementMaskS=0 elementsPerBatch=82 */
/* optSingleColVgpr=0 optSharedColVgpr=0 optSGPRUsage=BufferLoad_Edge_Mask optSrdIncForRow=0 */

/******************************************/
/* Global Write Alpha Beta Edge Batch #0 (d1,d0,vc1,vc0) = */
/*    (0,0,0,0:vw1); (0,0,0,1:vw1); (0,0,0,2:vw1); (0,0,0,3:vw1); (0,0,0,4:vw1); (0,0,0,5:vw1); (0,0,0,6:vw1); (0,0,0,7:vw1); (0,1,0,0:vw1); (0,1,0,1:vw1); (0,1,0,2:vw1); (0,1,0,3:vw1); (0,1,0,4:vw1); (0,1,0,5:vw1); (0,1,0,6:vw1); (0,1,0,7:vw1); (0,2,0,0:vw1); (0,2,0,1:vw1); (0,2,0,2:vw1); (0,2,0,3:vw1); (0,2,0,4:vw1); (0,2,0,5:vw1); (0,2,0,6:vw1); (0,2,0,7:vw1); (0,3,0,0:vw1); (0,3,0,1:vw1); (0,3,0,2:vw1); (0,3,0,3:vw1); (0,3,0,4:vw1); (0,3,0,5:vw1); (0,3,0,6:vw1); (0,3,0,7:vw1); (0,4,0,0:vw1); (0,4,0,1:vw1); (0,4,0,2:vw1); (0,4,0,3:vw1); (0,4,0,4:vw1); (0,4,0,5:vw1); (0,4,0,6:vw1); (0,4,0,7:vw1); (0,5,0,0:vw1); (0,5,0,1:vw1); (0,5,0,2:vw1); (0,5,0,3:vw1); (0,5,0,4:vw1); (0,5,0,5:vw1); (0,5,0,6:vw1); (0,5,0,7:vw1); (0,6,0,0:vw1); (0,6,0,1:vw1); (0,6,0,2:vw1); (0,6,0,3:vw1); (0,6,0,4:vw1); (0,6,0,5:vw1); (0,6,0,6:vw1); (0,6,0,7:vw1); (0,7,0,0:vw1); (0,7,0,1:vw1); (0,7,0,2:vw1); (0,7,0,3:vw1); (0,7,0,4:vw1); (0,7,0,5:vw1); (0,7,0,6:vw1); (0,7,0,7:vw1); (1,0,0,0:vw1); (1,0,0,1:vw1); (1,0,0,2:vw1); (1,0,0,3:vw1); (1,0,0,4:vw1); (1,0,0,5:vw1); (1,0,0,6:vw1); (1,0,0,7:vw1); (1,1,0,0:vw1); (1,1,0,1:vw1); (1,1,0,2:vw1); (1,1,0,3:vw1); (1,1,0,4:vw1); (1,1,0,5:vw1); (1,1,0,6:vw1); (1,1,0,7:vw1); (1,2,0,0:vw1); (1,2,0,1:vw1) */
/******************************************/

/* calc coords, apply mask, and issue loads (if necessary) */
/* (d1,vc1,d0,vc0)=(0,0,0,0) */
v_cmp_lt_u32 s[52:53], v0, s[sgprSizeI]            // coord0 < size0
v_cmp_lt_u32 s[56:57], v1, s[sgprSizeJ]            // coord1 < size1
s_and_b64 s[56:57], s[52:53], s[56:57]             // in0 && in1
_v_add_lshl_u32 v6, v2, v0, 0x2                    // scaleToBpe: accumulate d0 lower and *= bpe into Cin addr
v_cndmask_b32 v6, -1, v6, s[56:57]                 // LDC clip if OOB. offset
_buffer_load_b32 v7, v6, s[sgprSrdC:sgprSrdC+3], 0, offen offset:0 // load C for beta calc
_v_add_lshl_u32 v6, v3, v0, 0x2                    // scaleToBpe: accumulate d0 lower and *= bpe into Cin addr
v_cndmask_b32 v6, -1, v6, s[56:57]                 // LDD clip if OOB. offset
/* (d1,vc1,d0,vc0)=(0,0,0,1) */
_v_add_co_u32 v4, vcc, v0, 1                       // coord0.1: coord0 += d0*sg0*VW + vc0
v_cmp_lt_u32 s[52:53], v4, s[sgprSizeI]            // coord0 < size0
v_cmp_lt_u32 s[56:57], v1, s[sgprSizeJ]            // coord1 < size1
s_and_b64 s[56:57], s[52:53], s[56:57]             // in0 && in1
_v_add_lshl_u32 v9, v2, v4, 0x2                    // scaleToBpe: accumulate d0 lower and *= bpe into Cin addr
v_cndmask_b32 v9, -1, v9, s[56:57]                 // LDC clip if OOB. offset
_buffer_load_b32 v10, v9, s[sgprSrdC:sgprSrdC+3], 0, offen offset:0 // load C for beta calc
_v_add_lshl_u32 v9, v3, v4, 0x2                    // scaleToBpe: accumulate d0 lower and *= bpe into Cin addr
v_cndmask_b32 v9, -1, v9, s[56:57]                 // LDD clip if OOB. offset
/* (d1,vc1,d0,vc0)=(0,0,0,2) */
_v_add_co_u32 v4, vcc, v0, 2                       // coord0.1: coord0 += d0*sg0*VW + vc0
v_cmp_lt_u32 s[52:53], v4, s[sgprSizeI]            // coord0 < size0
v_cmp_lt_u32 s[56:57], v1, s[sgprSizeJ]            // coord1 < size1
s_and_b64 s[56:57], s[52:53], s[56:57]             // in0 && in1
_v_add_lshl_u32 v12, v2, v4, 0x2                   // scaleToBpe: accumulate d0 lower and *= bpe into Cin addr
v_cndmask_b32 v12, -1, v12, s[56:57]               // LDC clip if OOB. offset
_buffer_load_b32 v13, v12, s[sgprSrdC:sgprSrdC+3], 0, offen offset:0 // load C for beta calc
_v_add_lshl_u32 v12, v3, v4, 0x2                   // scaleToBpe: accumulate d0 lower and *= bpe into Cin addr
v_cndmask_b32 v12, -1, v12, s[56:57]               // LDD clip if OOB. offset
/* (d1,vc1,d0,vc0)=(0,0,0,3) */
_v_add_co_u32 v4, vcc, v0, 3                       // coord0.1: coord0 += d0*sg0*VW + vc0
v_cmp_lt_u32 s[52:53], v4, s[sgprSizeI]            // coord0 < size0
v_cmp_lt_u32 s[56:57], v1, s[sgprSizeJ]            // coord1 < size1
s_and_b64 s[56:57], s[52:53], s[56:57]             // in0 && in1
_v_add_lshl_u32 v15, v2, v4, 0x2                   // scaleToBpe: accumulate d0 lower and *= bpe into Cin addr
v_cndmask_b32 v15, -1, v15, s[56:57]               // LDC clip if OOB. offset
_buffer_load_b32 v16, v15, s[sgprSrdC:sgprSrdC+3], 0, offen offset:0 // load C for beta calc
_v_add_lshl_u32 v15, v3, v4, 0x2                   // scaleToBpe: accumulate d0 lower and *= bpe into Cin addr
v_cndmask_b32 v15, -1, v15, s[56:57]               // LDD clip if OOB. offset
	;; [unrolled: 10-line block ×6, first 2 shown]
/* (d1,vc1,d0,vc0)=(0,0,1,0) */
_v_add_co_u32 v4, vcc, v0, 16                      // coord0.1: coord0 += d0*sg0*VW + vc0
v_cmp_lt_u32 s[52:53], v4, s[sgprSizeI]            // coord0 < size0
v_cmp_lt_u32 s[56:57], v1, s[sgprSizeJ]            // coord1 < size1
s_and_b64 s[56:57], s[52:53], s[56:57]             // in0 && in1
_v_add_lshl_u32 v30, v2, v4, 0x2                   // scaleToBpe: accumulate d0 lower and *= bpe into Cin addr
v_cndmask_b32 v30, -1, v30, s[56:57]               // LDC clip if OOB. offset
_buffer_load_b32 v31, v30, s[sgprSrdC:sgprSrdC+3], 0, offen offset:0 // load C for beta calc
_v_add_lshl_u32 v30, v3, v4, 0x2                   // scaleToBpe: accumulate d0 lower and *= bpe into Cin addr
v_cndmask_b32 v30, -1, v30, s[56:57]               // LDD clip if OOB. offset
/* (d1,vc1,d0,vc0)=(0,0,1,1) */
_v_add_co_u32 v4, vcc, v0, 17                      // coord0.1: coord0 += d0*sg0*VW + vc0
v_cmp_lt_u32 s[52:53], v4, s[sgprSizeI]            // coord0 < size0
v_cmp_lt_u32 s[56:57], v1, s[sgprSizeJ]            // coord1 < size1
s_and_b64 s[56:57], s[52:53], s[56:57]             // in0 && in1
_v_add_lshl_u32 v33, v2, v4, 0x2                   // scaleToBpe: accumulate d0 lower and *= bpe into Cin addr
v_cndmask_b32 v33, -1, v33, s[56:57]               // LDC clip if OOB. offset
_buffer_load_b32 v34, v33, s[sgprSrdC:sgprSrdC+3], 0, offen offset:0 // load C for beta calc
_v_add_lshl_u32 v33, v3, v4, 0x2                   // scaleToBpe: accumulate d0 lower and *= bpe into Cin addr
v_cndmask_b32 v33, -1, v33, s[56:57]               // LDD clip if OOB. offset
	;; [unrolled: 10-line block ×24, first 2 shown]
/* (d1,vc1,d0,vc0)=(0,0,4,0) */
s_mov_b32 s52, 128                                 // coordOffset0 d0=4 vc0=0
_v_add_co_u32 v4, vcc, v0, s52                     // coord0.2: coord0 += d0*sg0*VW + vc0
v_cmp_lt_u32 s[52:53], v4, s[sgprSizeI]            // coord0 < size0
v_cmp_lt_u32 s[56:57], v1, s[sgprSizeJ]            // coord1 < size1
s_and_b64 s[56:57], s[52:53], s[56:57]             // in0 && in1
_v_add_lshl_u32 v102, v2, v4, 0x2                  // scaleToBpe: accumulate d0 lower and *= bpe into Cin addr
v_cndmask_b32 v102, -1, v102, s[56:57]             // LDC clip if OOB. offset
_buffer_load_b32 v103, v102, s[sgprSrdC:sgprSrdC+3], 0, offen offset:0 // load C for beta calc
_v_add_lshl_u32 v102, v3, v4, 0x2                  // scaleToBpe: accumulate d0 lower and *= bpe into Cin addr
v_cndmask_b32 v102, -1, v102, s[56:57]             // LDD clip if OOB. offset
/* (d1,vc1,d0,vc0)=(0,0,4,1) */
s_mov_b32 s52, 129                                 // coordOffset0 d0=4 vc0=1
_v_add_co_u32 v4, vcc, v0, s52                     // coord0.2: coord0 += d0*sg0*VW + vc0
v_cmp_lt_u32 s[52:53], v4, s[sgprSizeI]            // coord0 < size0
v_cmp_lt_u32 s[56:57], v1, s[sgprSizeJ]            // coord1 < size1
s_and_b64 s[56:57], s[52:53], s[56:57]             // in0 && in1
_v_add_lshl_u32 v105, v2, v4, 0x2                  // scaleToBpe: accumulate d0 lower and *= bpe into Cin addr
v_cndmask_b32 v105, -1, v105, s[56:57]             // LDC clip if OOB. offset
_buffer_load_b32 v106, v105, s[sgprSrdC:sgprSrdC+3], 0, offen offset:0 // load C for beta calc
_v_add_lshl_u32 v105, v3, v4, 0x2                  // scaleToBpe: accumulate d0 lower and *= bpe into Cin addr
v_cndmask_b32 v105, -1, v105, s[56:57]             // LDD clip if OOB. offset
	;; [unrolled: 11-line block ×32, first 2 shown]
/* (d1,vc1,d0,vc0)=(1,0,0,0) */
_v_add_co_u32 v1, vcc, v1, 64                      // coord1.1: coord1Vgpr += d1*sg1*VW + vc1

/* Fix for UseInitialStridesCD, emitAddressSetupCode */
s_mul_i32 s52, s[sgprStrideC1J], 64                // scale stride
_v_add_u32 v2, v2, s52                             // ROWINC- Move cinRowPtr to next row
s_mul_i32 s52, s[sgprStrideD1J], 64                // scale stride
_v_add_u32 v3, v3, s52                             // Move coutRowPtr to next row
v_cmp_lt_u32 s[52:53], v0, s[sgprSizeI]            // coord0 < size0
v_cmp_lt_u32 s[56:57], v1, s[sgprSizeJ]            // coord1 < size1
s_and_b64 s[56:57], s[52:53], s[56:57]             // in0 && in1
_v_add_lshl_u32 v201, v2, v0, 0x2                  // scaleToBpe: accumulate d0 lower and *= bpe into Cin addr
v_cndmask_b32 v201, -1, v201, s[56:57]             // LDC clip if OOB. offset
_buffer_load_b32 v202, v201, s[sgprSrdC:sgprSrdC+3], 0, offen offset:0 // load C for beta calc
_v_add_lshl_u32 v201, v3, v0, 0x2                  // scaleToBpe: accumulate d0 lower and *= bpe into Cin addr
v_cndmask_b32 v201, -1, v201, s[56:57]             // LDD clip if OOB. offset
/* (d1,vc1,d0,vc0)=(1,0,0,1) */
_v_add_co_u32 v4, vcc, v0, 1                       // coord0.1: coord0 += d0*sg0*VW + vc0
v_cmp_lt_u32 s[52:53], v4, s[sgprSizeI]            // coord0 < size0
v_cmp_lt_u32 s[56:57], v1, s[sgprSizeJ]            // coord1 < size1
s_and_b64 s[56:57], s[52:53], s[56:57]             // in0 && in1
_v_add_lshl_u32 v204, v2, v4, 0x2                  // scaleToBpe: accumulate d0 lower and *= bpe into Cin addr
v_cndmask_b32 v204, -1, v204, s[56:57]             // LDC clip if OOB. offset
_buffer_load_b32 v205, v204, s[sgprSrdC:sgprSrdC+3], 0, offen offset:0 // load C for beta calc
_v_add_lshl_u32 v204, v3, v4, 0x2                  // scaleToBpe: accumulate d0 lower and *= bpe into Cin addr
v_cndmask_b32 v204, -1, v204, s[56:57]             // LDD clip if OOB. offset
/* (d1,vc1,d0,vc0)=(1,0,0,2) */
_v_add_co_u32 v4, vcc, v0, 2                       // coord0.1: coord0 += d0*sg0*VW + vc0
	;; [unrolled: 10-line block ×7, first 2 shown]
v_cmp_lt_u32 s[52:53], v4, s[sgprSizeI]            // coord0 < size0
v_cmp_lt_u32 s[56:57], v1, s[sgprSizeJ]            // coord1 < size1
s_and_b64 s[56:57], s[52:53], s[56:57]             // in0 && in1
_v_add_lshl_u32 v222, v2, v4, 0x2                  // scaleToBpe: accumulate d0 lower and *= bpe into Cin addr
v_cndmask_b32 v222, -1, v222, s[56:57]             // LDC clip if OOB. offset
_buffer_load_b32 v223, v222, s[sgprSrdC:sgprSrdC+3], 0, offen offset:0 // load C for beta calc
_v_add_lshl_u32 v222, v3, v4, 0x2                  // scaleToBpe: accumulate d0 lower and *= bpe into Cin addr
v_cndmask_b32 v222, -1, v222, s[56:57]             // LDD clip if OOB. offset
/* (d1,vc1,d0,vc0)=(1,0,1,0) */
_v_add_co_u32 v4, vcc, v0, 16                      // coord0.1: coord0 += d0*sg0*VW + vc0
v_cmp_lt_u32 s[52:53], v4, s[sgprSizeI]            // coord0 < size0
v_cmp_lt_u32 s[56:57], v1, s[sgprSizeJ]            // coord1 < size1
s_and_b64 s[56:57], s[52:53], s[56:57]             // in0 && in1
_v_add_lshl_u32 v225, v2, v4, 0x2                  // scaleToBpe: accumulate d0 lower and *= bpe into Cin addr
v_cndmask_b32 v225, -1, v225, s[56:57]             // LDC clip if OOB. offset
_buffer_load_b32 v226, v225, s[sgprSrdC:sgprSrdC+3], 0, offen offset:0 // load C for beta calc
_v_add_lshl_u32 v225, v3, v4, 0x2                  // scaleToBpe: accumulate d0 lower and *= bpe into Cin addr
v_cndmask_b32 v225, -1, v225, s[56:57]             // LDD clip if OOB. offset
/* (d1,vc1,d0,vc0)=(1,0,1,1) */
_v_add_co_u32 v4, vcc, v0, 17                      // coord0.1: coord0 += d0*sg0*VW + vc0
	;; [unrolled: 10-line block ×10, first 2 shown]
v_cmp_lt_u32 s[52:53], v4, s[sgprSizeI]            // coord0 < size0
v_cmp_lt_u32 s[56:57], v1, s[sgprSizeJ]            // coord1 < size1
s_and_b64 s[56:57], s[52:53], s[56:57]             // in0 && in1
_v_add_lshl_u32 v252, v2, v4, 0x2                  // scaleToBpe: accumulate d0 lower and *= bpe into Cin addr
v_cndmask_b32 v252, -1, v252, s[56:57]             // LDC clip if OOB. offset
_buffer_load_b32 v253, v252, s[sgprSrdC:sgprSrdC+3], 0, offen offset:0 // load C for beta calc
_v_add_lshl_u32 v252, v3, v4, 0x2                  // scaleToBpe: accumulate d0 lower and *= bpe into Cin addr
v_cndmask_b32 v252, -1, v252, s[56:57]             // LDD clip if OOB. offset
v_accvgpr_read_b32 v[vgprValuC+8], acc0 // copy acc to vreg[0]
v_accvgpr_read_b32 v[vgprValuC+11], acc16 // copy acc to vreg[1]
v_accvgpr_read_b32 v[vgprValuC+14], acc1 // copy acc to vreg[2]
v_accvgpr_read_b32 v[vgprValuC+17], acc17 // copy acc to vreg[3]
v_accvgpr_read_b32 v[vgprValuC+20], acc2 // copy acc to vreg[4]
v_accvgpr_read_b32 v[vgprValuC+23], acc18 // copy acc to vreg[5]
v_accvgpr_read_b32 v[vgprValuC+26], acc3 // copy acc to vreg[6]
v_accvgpr_read_b32 v[vgprValuC+29], acc19 // copy acc to vreg[7]
v_accvgpr_read_b32 v[vgprValuC+32], acc4 // copy acc to vreg[8]
v_accvgpr_read_b32 v[vgprValuC+35], acc20 // copy acc to vreg[9]
v_accvgpr_read_b32 v[vgprValuC+38], acc5 // copy acc to vreg[10]
v_accvgpr_read_b32 v[vgprValuC+41], acc21 // copy acc to vreg[11]
v_accvgpr_read_b32 v[vgprValuC+44], acc6 // copy acc to vreg[12]
v_accvgpr_read_b32 v[vgprValuC+47], acc22 // copy acc to vreg[13]
v_accvgpr_read_b32 v[vgprValuC+50], acc7 // copy acc to vreg[14]
v_accvgpr_read_b32 v[vgprValuC+53], acc23 // copy acc to vreg[15]
v_accvgpr_read_b32 v[vgprValuC+56], acc8 // copy acc to vreg[16]
v_accvgpr_read_b32 v[vgprValuC+59], acc24 // copy acc to vreg[17]
v_accvgpr_read_b32 v[vgprValuC+62], acc9 // copy acc to vreg[18]
v_accvgpr_read_b32 v[vgprValuC+65], acc25 // copy acc to vreg[19]
v_accvgpr_read_b32 v[vgprValuC+68], acc10 // copy acc to vreg[20]
v_accvgpr_read_b32 v[vgprValuC+71], acc26 // copy acc to vreg[21]
v_accvgpr_read_b32 v[vgprValuC+74], acc11 // copy acc to vreg[22]
v_accvgpr_read_b32 v[vgprValuC+77], acc27 // copy acc to vreg[23]
v_accvgpr_read_b32 v[vgprValuC+80], acc12 // copy acc to vreg[24]
v_accvgpr_read_b32 v[vgprValuC+83], acc28 // copy acc to vreg[25]
v_accvgpr_read_b32 v[vgprValuC+86], acc13 // copy acc to vreg[26]
v_accvgpr_read_b32 v[vgprValuC+89], acc29 // copy acc to vreg[27]
v_accvgpr_read_b32 v[vgprValuC+92], acc14 // copy acc to vreg[28]
v_accvgpr_read_b32 v[vgprValuC+95], acc30 // copy acc to vreg[29]
v_accvgpr_read_b32 v[vgprValuC+98], acc15 // copy acc to vreg[30]
v_accvgpr_read_b32 v[vgprValuC+101], acc31 // copy acc to vreg[31]
v_accvgpr_read_b32 v[vgprValuC+104], acc32 // copy acc to vreg[32]
v_accvgpr_read_b32 v[vgprValuC+107], acc48 // copy acc to vreg[33]
v_accvgpr_read_b32 v[vgprValuC+110], acc33 // copy acc to vreg[34]
v_accvgpr_read_b32 v[vgprValuC+113], acc49 // copy acc to vreg[35]
v_accvgpr_read_b32 v[vgprValuC+116], acc34 // copy acc to vreg[36]
v_accvgpr_read_b32 v[vgprValuC+119], acc50 // copy acc to vreg[37]
v_accvgpr_read_b32 v[vgprValuC+122], acc35 // copy acc to vreg[38]
v_accvgpr_read_b32 v[vgprValuC+125], acc51 // copy acc to vreg[39]
v_accvgpr_read_b32 v[vgprValuC+128], acc36 // copy acc to vreg[40]
v_accvgpr_read_b32 v[vgprValuC+131], acc52 // copy acc to vreg[41]
v_accvgpr_read_b32 v[vgprValuC+134], acc37 // copy acc to vreg[42]
v_accvgpr_read_b32 v[vgprValuC+137], acc53 // copy acc to vreg[43]
v_accvgpr_read_b32 v[vgprValuC+140], acc38 // copy acc to vreg[44]
v_accvgpr_read_b32 v[vgprValuC+143], acc54 // copy acc to vreg[45]
v_accvgpr_read_b32 v[vgprValuC+146], acc39 // copy acc to vreg[46]
v_accvgpr_read_b32 v[vgprValuC+149], acc55 // copy acc to vreg[47]
v_accvgpr_read_b32 v[vgprValuC+152], acc40 // copy acc to vreg[48]
v_accvgpr_read_b32 v[vgprValuC+155], acc56 // copy acc to vreg[49]
v_accvgpr_read_b32 v[vgprValuC+158], acc41 // copy acc to vreg[50]
v_accvgpr_read_b32 v[vgprValuC+161], acc57 // copy acc to vreg[51]
v_accvgpr_read_b32 v[vgprValuC+164], acc42 // copy acc to vreg[52]
v_accvgpr_read_b32 v[vgprValuC+167], acc58 // copy acc to vreg[53]
v_accvgpr_read_b32 v[vgprValuC+170], acc43 // copy acc to vreg[54]
v_accvgpr_read_b32 v[vgprValuC+173], acc59 // copy acc to vreg[55]
v_accvgpr_read_b32 v[vgprValuC+176], acc44 // copy acc to vreg[56]
v_accvgpr_read_b32 v[vgprValuC+179], acc60 // copy acc to vreg[57]
v_accvgpr_read_b32 v[vgprValuC+182], acc45 // copy acc to vreg[58]
v_accvgpr_read_b32 v[vgprValuC+185], acc61 // copy acc to vreg[59]
v_accvgpr_read_b32 v[vgprValuC+188], acc46 // copy acc to vreg[60]
v_accvgpr_read_b32 v[vgprValuC+191], acc62 // copy acc to vreg[61]
v_accvgpr_read_b32 v[vgprValuC+194], acc47 // copy acc to vreg[62]
v_accvgpr_read_b32 v[vgprValuC+200], acc63 // copy acc to vreg[63]
v_accvgpr_read_b32 v[vgprValuC+203], acc64 // copy acc to vreg[64]
v_accvgpr_read_b32 v[vgprValuC+206], acc80 // copy acc to vreg[65]
v_accvgpr_read_b32 v[vgprValuC+209], acc65 // copy acc to vreg[66]
v_accvgpr_read_b32 v[vgprValuC+212], acc81 // copy acc to vreg[67]
v_accvgpr_read_b32 v[vgprValuC+215], acc66 // copy acc to vreg[68]
v_accvgpr_read_b32 v[vgprValuC+218], acc82 // copy acc to vreg[69]
v_accvgpr_read_b32 v[vgprValuC+221], acc67 // copy acc to vreg[70]
v_accvgpr_read_b32 v[vgprValuC+224], acc83 // copy acc to vreg[71]
v_accvgpr_read_b32 v[vgprValuC+227], acc68 // copy acc to vreg[72]
v_accvgpr_read_b32 v[vgprValuC+230], acc84 // copy acc to vreg[73]
v_accvgpr_read_b32 v[vgprValuC+233], acc69 // copy acc to vreg[74]
v_accvgpr_read_b32 v[vgprValuC+236], acc85 // copy acc to vreg[75]
v_accvgpr_read_b32 v[vgprValuC+239], acc70 // copy acc to vreg[76]
v_accvgpr_read_b32 v[vgprValuC+242], acc86 // copy acc to vreg[77]
v_accvgpr_read_b32 v[vgprValuC+245], acc71 // copy acc to vreg[78]
v_accvgpr_read_b32 v[vgprValuC+248], acc87 // copy acc to vreg[79]
v_accvgpr_read_b32 v[vgprValuC+251], acc72 // copy acc to vreg[80]
v_accvgpr_read_b32 v[vgprValuC+254], acc88 // copy acc to vreg[81]
s_nop 1                                            // 2 wait states required before reading vgpr

/* rC *= alpha batchElements=[(0, 0, 0, 0), (0, 0, 0, 1), (0, 0, 0, 2), (0, 0, 0, 3), (0, 0, 0, 4), (0, 0, 0, 5), (0, 0, 0, 6), (0, 0, 0, 7), (0, 1, 0, 0), (0, 1, 0, 1), (0, 1, 0, 2), (0, 1, 0, 3), (0, 1, 0, 4), (0, 1, 0, 5), (0, 1, 0, 6), (0, 1, 0, 7), (0, 2, 0, 0), (0, 2, 0, 1), (0, 2, 0, 2), (0, 2, 0, 3), (0, 2, 0, 4), (0, 2, 0, 5), (0, 2, 0, 6), (0, 2, 0, 7), (0, 3, 0, 0), (0, 3, 0, 1), (0, 3, 0, 2), (0, 3, 0, 3), (0, 3, 0, 4), (0, 3, 0, 5), (0, 3, 0, 6), (0, 3, 0, 7), (0, 4, 0, 0), (0, 4, 0, 1), (0, 4, 0, 2), (0, 4, 0, 3), (0, 4, 0, 4), (0, 4, 0, 5), (0, 4, 0, 6), (0, 4, 0, 7), (0, 5, 0, 0), (0, 5, 0, 1), (0, 5, 0, 2), (0, 5, 0, 3), (0, 5, 0, 4), (0, 5, 0, 5), (0, 5, 0, 6), (0, 5, 0, 7), (0, 6, 0, 0), (0, 6, 0, 1), (0, 6, 0, 2), (0, 6, 0, 3), (0, 6, 0, 4), (0, 6, 0, 5), (0, 6, 0, 6), (0, 6, 0, 7), (0, 7, 0, 0), (0, 7, 0, 1), (0, 7, 0, 2), (0, 7, 0, 3), (0, 7, 0, 4), (0, 7, 0, 5), (0, 7, 0, 6), (0, 7, 0, 7), (1, 0, 0, 0), (1, 0, 0, 1), (1, 0, 0, 2), (1, 0, 0, 3), (1, 0, 0, 4), (1, 0, 0, 5), (1, 0, 0, 6), (1, 0, 0, 7), (1, 1, 0, 0), (1, 1, 0, 1), (1, 1, 0, 2), (1, 1, 0, 3), (1, 1, 0, 4), (1, 1, 0, 5), (1, 1, 0, 6), (1, 1, 0, 7), (1, 2, 0, 0), (1, 2, 0, 1)] */
v_mul_f32 v[vgprValuC+8], s[sgprAlpha], v[vgprValuC+8] // *= alpha
v_mul_f32 v[vgprValuC+11], s[sgprAlpha], v[vgprValuC+11] // *= alpha
v_mul_f32 v[vgprValuC+14], s[sgprAlpha], v[vgprValuC+14] // *= alpha
v_mul_f32 v[vgprValuC+17], s[sgprAlpha], v[vgprValuC+17] // *= alpha
v_mul_f32 v[vgprValuC+20], s[sgprAlpha], v[vgprValuC+20] // *= alpha
v_mul_f32 v[vgprValuC+23], s[sgprAlpha], v[vgprValuC+23] // *= alpha
v_mul_f32 v[vgprValuC+26], s[sgprAlpha], v[vgprValuC+26] // *= alpha
v_mul_f32 v[vgprValuC+29], s[sgprAlpha], v[vgprValuC+29] // *= alpha
v_mul_f32 v[vgprValuC+32], s[sgprAlpha], v[vgprValuC+32] // *= alpha
v_mul_f32 v[vgprValuC+35], s[sgprAlpha], v[vgprValuC+35] // *= alpha
v_mul_f32 v[vgprValuC+38], s[sgprAlpha], v[vgprValuC+38] // *= alpha
v_mul_f32 v[vgprValuC+41], s[sgprAlpha], v[vgprValuC+41] // *= alpha
v_mul_f32 v[vgprValuC+44], s[sgprAlpha], v[vgprValuC+44] // *= alpha
v_mul_f32 v[vgprValuC+47], s[sgprAlpha], v[vgprValuC+47] // *= alpha
v_mul_f32 v[vgprValuC+50], s[sgprAlpha], v[vgprValuC+50] // *= alpha
v_mul_f32 v[vgprValuC+53], s[sgprAlpha], v[vgprValuC+53] // *= alpha
v_mul_f32 v[vgprValuC+56], s[sgprAlpha], v[vgprValuC+56] // *= alpha
v_mul_f32 v[vgprValuC+59], s[sgprAlpha], v[vgprValuC+59] // *= alpha
v_mul_f32 v[vgprValuC+62], s[sgprAlpha], v[vgprValuC+62] // *= alpha
v_mul_f32 v[vgprValuC+65], s[sgprAlpha], v[vgprValuC+65] // *= alpha
v_mul_f32 v[vgprValuC+68], s[sgprAlpha], v[vgprValuC+68] // *= alpha
v_mul_f32 v[vgprValuC+71], s[sgprAlpha], v[vgprValuC+71] // *= alpha
v_mul_f32 v[vgprValuC+74], s[sgprAlpha], v[vgprValuC+74] // *= alpha
v_mul_f32 v[vgprValuC+77], s[sgprAlpha], v[vgprValuC+77] // *= alpha
v_mul_f32 v[vgprValuC+80], s[sgprAlpha], v[vgprValuC+80] // *= alpha
v_mul_f32 v[vgprValuC+83], s[sgprAlpha], v[vgprValuC+83] // *= alpha
v_mul_f32 v[vgprValuC+86], s[sgprAlpha], v[vgprValuC+86] // *= alpha
v_mul_f32 v[vgprValuC+89], s[sgprAlpha], v[vgprValuC+89] // *= alpha
v_mul_f32 v[vgprValuC+92], s[sgprAlpha], v[vgprValuC+92] // *= alpha
v_mul_f32 v[vgprValuC+95], s[sgprAlpha], v[vgprValuC+95] // *= alpha
v_mul_f32 v[vgprValuC+98], s[sgprAlpha], v[vgprValuC+98] // *= alpha
v_mul_f32 v[vgprValuC+101], s[sgprAlpha], v[vgprValuC+101] // *= alpha
v_mul_f32 v[vgprValuC+104], s[sgprAlpha], v[vgprValuC+104] // *= alpha
v_mul_f32 v[vgprValuC+107], s[sgprAlpha], v[vgprValuC+107] // *= alpha
v_mul_f32 v[vgprValuC+110], s[sgprAlpha], v[vgprValuC+110] // *= alpha
v_mul_f32 v[vgprValuC+113], s[sgprAlpha], v[vgprValuC+113] // *= alpha
v_mul_f32 v[vgprValuC+116], s[sgprAlpha], v[vgprValuC+116] // *= alpha
v_mul_f32 v[vgprValuC+119], s[sgprAlpha], v[vgprValuC+119] // *= alpha
v_mul_f32 v[vgprValuC+122], s[sgprAlpha], v[vgprValuC+122] // *= alpha
v_mul_f32 v[vgprValuC+125], s[sgprAlpha], v[vgprValuC+125] // *= alpha
v_mul_f32 v[vgprValuC+128], s[sgprAlpha], v[vgprValuC+128] // *= alpha
v_mul_f32 v[vgprValuC+131], s[sgprAlpha], v[vgprValuC+131] // *= alpha
v_mul_f32 v[vgprValuC+134], s[sgprAlpha], v[vgprValuC+134] // *= alpha
v_mul_f32 v[vgprValuC+137], s[sgprAlpha], v[vgprValuC+137] // *= alpha
v_mul_f32 v[vgprValuC+140], s[sgprAlpha], v[vgprValuC+140] // *= alpha
v_mul_f32 v[vgprValuC+143], s[sgprAlpha], v[vgprValuC+143] // *= alpha
v_mul_f32 v[vgprValuC+146], s[sgprAlpha], v[vgprValuC+146] // *= alpha
v_mul_f32 v[vgprValuC+149], s[sgprAlpha], v[vgprValuC+149] // *= alpha
v_mul_f32 v[vgprValuC+152], s[sgprAlpha], v[vgprValuC+152] // *= alpha
v_mul_f32 v[vgprValuC+155], s[sgprAlpha], v[vgprValuC+155] // *= alpha
v_mul_f32 v[vgprValuC+158], s[sgprAlpha], v[vgprValuC+158] // *= alpha
v_mul_f32 v[vgprValuC+161], s[sgprAlpha], v[vgprValuC+161] // *= alpha
v_mul_f32 v[vgprValuC+164], s[sgprAlpha], v[vgprValuC+164] // *= alpha
v_mul_f32 v[vgprValuC+167], s[sgprAlpha], v[vgprValuC+167] // *= alpha
v_mul_f32 v[vgprValuC+170], s[sgprAlpha], v[vgprValuC+170] // *= alpha
v_mul_f32 v[vgprValuC+173], s[sgprAlpha], v[vgprValuC+173] // *= alpha
v_mul_f32 v[vgprValuC+176], s[sgprAlpha], v[vgprValuC+176] // *= alpha
v_mul_f32 v[vgprValuC+179], s[sgprAlpha], v[vgprValuC+179] // *= alpha
v_mul_f32 v[vgprValuC+182], s[sgprAlpha], v[vgprValuC+182] // *= alpha
v_mul_f32 v[vgprValuC+185], s[sgprAlpha], v[vgprValuC+185] // *= alpha
v_mul_f32 v[vgprValuC+188], s[sgprAlpha], v[vgprValuC+188] // *= alpha
v_mul_f32 v[vgprValuC+191], s[sgprAlpha], v[vgprValuC+191] // *= alpha
v_mul_f32 v[vgprValuC+194], s[sgprAlpha], v[vgprValuC+194] // *= alpha
v_mul_f32 v[vgprValuC+200], s[sgprAlpha], v[vgprValuC+200] // *= alpha
v_mul_f32 v[vgprValuC+203], s[sgprAlpha], v[vgprValuC+203] // *= alpha
v_mul_f32 v[vgprValuC+206], s[sgprAlpha], v[vgprValuC+206] // *= alpha
v_mul_f32 v[vgprValuC+209], s[sgprAlpha], v[vgprValuC+209] // *= alpha
v_mul_f32 v[vgprValuC+212], s[sgprAlpha], v[vgprValuC+212] // *= alpha
v_mul_f32 v[vgprValuC+215], s[sgprAlpha], v[vgprValuC+215] // *= alpha
v_mul_f32 v[vgprValuC+218], s[sgprAlpha], v[vgprValuC+218] // *= alpha
v_mul_f32 v[vgprValuC+221], s[sgprAlpha], v[vgprValuC+221] // *= alpha
v_mul_f32 v[vgprValuC+224], s[sgprAlpha], v[vgprValuC+224] // *= alpha
v_mul_f32 v[vgprValuC+227], s[sgprAlpha], v[vgprValuC+227] // *= alpha
v_mul_f32 v[vgprValuC+230], s[sgprAlpha], v[vgprValuC+230] // *= alpha
v_mul_f32 v[vgprValuC+233], s[sgprAlpha], v[vgprValuC+233] // *= alpha
v_mul_f32 v[vgprValuC+236], s[sgprAlpha], v[vgprValuC+236] // *= alpha
v_mul_f32 v[vgprValuC+239], s[sgprAlpha], v[vgprValuC+239] // *= alpha
v_mul_f32 v[vgprValuC+242], s[sgprAlpha], v[vgprValuC+242] // *= alpha
v_mul_f32 v[vgprValuC+245], s[sgprAlpha], v[vgprValuC+245] // *= alpha
v_mul_f32 v[vgprValuC+248], s[sgprAlpha], v[vgprValuC+248] // *= alpha
v_mul_f32 v[vgprValuC+251], s[sgprAlpha], v[vgprValuC+251] // *= alpha
v_mul_f32 v[vgprValuC+254], s[sgprAlpha], v[vgprValuC+254] // *= alpha
s_waitcnt vmcnt(0)                                 // wait C

/* apply mask, calc new C and issue writes */
_v_mac_f32 v[vgprValuC+8], v7, s[sgprBeta]         // finalSum = sum*alpha + C*beta
_buffer_store_b32 v8, v6, s[sgprSrdD:sgprSrdD+3], 0, offen, offset:0 // store D
_v_mac_f32 v[vgprValuC+11], v10, s[sgprBeta]       // finalSum = sum*alpha + C*beta
_buffer_store_b32 v11, v9, s[sgprSrdD:sgprSrdD+3], 0, offen, offset:0 // store D
_v_mac_f32 v[vgprValuC+14], v13, s[sgprBeta]       // finalSum = sum*alpha + C*beta
	;; [unrolled: 2-line block ×30, first 2 shown]
_buffer_store_b32 v98, v96, s[sgprSrdD:sgprSrdD+3], 0, offen, offset:0 // store D
_v_mac_f32 v[vgprValuC+101], v100, s[sgprBeta]     // finalSum = sum*alpha + C*beta
_buffer_store_b32 v101, v99, s[sgprSrdD:sgprSrdD+3], 0, offen, offset:0 // store D
_v_mac_f32 v[vgprValuC+104], v103, s[sgprBeta]     // finalSum = sum*alpha + C*beta
	;; [unrolled: 2-line block ×51, first 2 shown]
_buffer_store_b32 v254, v252, s[sgprSrdD:sgprSrdD+3], 0, offen, offset:0 // store D
s_nop 0                                            // 1 wait state required when next inst writes vgprs held by previous dwordx4 store inst
/* optSingleColVgpr=0 optSharedColVgpr=0 optSGPRUsage=BufferLoad_Edge_Mask optSrdIncForRow=0 */

/******************************************/
/* Global Write Alpha Beta Edge Batch #1 (d1,d0,vc1,vc0) = */
/*    (1,2,0,2:vw1); (1,2,0,3:vw1); (1,2,0,4:vw1); (1,2,0,5:vw1); (1,2,0,6:vw1); (1,2,0,7:vw1); (1,3,0,0:vw1); (1,3,0,1:vw1); (1,3,0,2:vw1); (1,3,0,3:vw1); (1,3,0,4:vw1); (1,3,0,5:vw1); (1,3,0,6:vw1); (1,3,0,7:vw1); (1,4,0,0:vw1); (1,4,0,1:vw1); (1,4,0,2:vw1); (1,4,0,3:vw1); (1,4,0,4:vw1); (1,4,0,5:vw1); (1,4,0,6:vw1); (1,4,0,7:vw1); (1,5,0,0:vw1); (1,5,0,1:vw1); (1,5,0,2:vw1); (1,5,0,3:vw1); (1,5,0,4:vw1); (1,5,0,5:vw1); (1,5,0,6:vw1); (1,5,0,7:vw1); (1,6,0,0:vw1); (1,6,0,1:vw1); (1,6,0,2:vw1); (1,6,0,3:vw1); (1,6,0,4:vw1); (1,6,0,5:vw1); (1,6,0,6:vw1); (1,6,0,7:vw1); (1,7,0,0:vw1); (1,7,0,1:vw1); (1,7,0,2:vw1); (1,7,0,3:vw1); (1,7,0,4:vw1); (1,7,0,5:vw1); (1,7,0,6:vw1); (1,7,0,7:vw1); (2,0,0,0:vw1); (2,0,0,1:vw1); (2,0,0,2:vw1); (2,0,0,3:vw1); (2,0,0,4:vw1); (2,0,0,5:vw1); (2,0,0,6:vw1); (2,0,0,7:vw1); (2,1,0,0:vw1); (2,1,0,1:vw1); (2,1,0,2:vw1); (2,1,0,3:vw1); (2,1,0,4:vw1); (2,1,0,5:vw1); (2,1,0,6:vw1); (2,1,0,7:vw1); (2,2,0,0:vw1); (2,2,0,1:vw1); (2,2,0,2:vw1); (2,2,0,3:vw1); (2,2,0,4:vw1); (2,2,0,5:vw1); (2,2,0,6:vw1); (2,2,0,7:vw1); (2,3,0,0:vw1); (2,3,0,1:vw1); (2,3,0,2:vw1); (2,3,0,3:vw1); (2,3,0,4:vw1); (2,3,0,5:vw1); (2,3,0,6:vw1); (2,3,0,7:vw1); (2,4,0,0:vw1); (2,4,0,1:vw1); (2,4,0,2:vw1); (2,4,0,3:vw1) */
/******************************************/

/* calc coords, apply mask, and issue loads (if necessary) */
/* (d1,vc1,d0,vc0)=(1,0,2,2) */
_v_add_co_u32 v4, vcc, v0, 34                      // coord0.1: coord0 += d0*sg0*VW + vc0
v_cmp_lt_u32 s[52:53], v4, s[sgprSizeI]            // coord0 < size0
v_cmp_lt_u32 s[56:57], v1, s[sgprSizeJ]            // coord1 < size1
s_and_b64 s[56:57], s[52:53], s[56:57]             // in0 && in1
_v_add_lshl_u32 v6, v2, v4, 0x2                    // scaleToBpe: accumulate d0 lower and *= bpe into Cin addr
v_cndmask_b32 v6, -1, v6, s[56:57]                 // LDC clip if OOB. offset
_buffer_load_b32 v7, v6, s[sgprSrdC:sgprSrdC+3], 0, offen offset:0 // load C for beta calc
_v_add_lshl_u32 v6, v3, v4, 0x2                    // scaleToBpe: accumulate d0 lower and *= bpe into Cin addr
v_cndmask_b32 v6, -1, v6, s[56:57]                 // LDD clip if OOB. offset
/* (d1,vc1,d0,vc0)=(1,0,2,3) */
_v_add_co_u32 v4, vcc, v0, 35                      // coord0.1: coord0 += d0*sg0*VW + vc0
v_cmp_lt_u32 s[52:53], v4, s[sgprSizeI]            // coord0 < size0
v_cmp_lt_u32 s[56:57], v1, s[sgprSizeJ]            // coord1 < size1
s_and_b64 s[56:57], s[52:53], s[56:57]             // in0 && in1
_v_add_lshl_u32 v9, v2, v4, 0x2                    // scaleToBpe: accumulate d0 lower and *= bpe into Cin addr
v_cndmask_b32 v9, -1, v9, s[56:57]                 // LDC clip if OOB. offset
_buffer_load_b32 v10, v9, s[sgprSrdC:sgprSrdC+3], 0, offen offset:0 // load C for beta calc
_v_add_lshl_u32 v9, v3, v4, 0x2                    // scaleToBpe: accumulate d0 lower and *= bpe into Cin addr
v_cndmask_b32 v9, -1, v9, s[56:57]                 // LDD clip if OOB. offset
/* (d1,vc1,d0,vc0)=(1,0,2,4) */
_v_add_co_u32 v4, vcc, v0, 36                      // coord0.1: coord0 += d0*sg0*VW + vc0
v_cmp_lt_u32 s[52:53], v4, s[sgprSizeI]            // coord0 < size0
v_cmp_lt_u32 s[56:57], v1, s[sgprSizeJ]            // coord1 < size1
s_and_b64 s[56:57], s[52:53], s[56:57]             // in0 && in1
_v_add_lshl_u32 v12, v2, v4, 0x2                   // scaleToBpe: accumulate d0 lower and *= bpe into Cin addr
v_cndmask_b32 v12, -1, v12, s[56:57]               // LDC clip if OOB. offset
_buffer_load_b32 v13, v12, s[sgprSrdC:sgprSrdC+3], 0, offen offset:0 // load C for beta calc
_v_add_lshl_u32 v12, v3, v4, 0x2                   // scaleToBpe: accumulate d0 lower and *= bpe into Cin addr
v_cndmask_b32 v12, -1, v12, s[56:57]               // LDD clip if OOB. offset
/* (d1,vc1,d0,vc0)=(1,0,2,5) */
_v_add_co_u32 v4, vcc, v0, 37                      // coord0.1: coord0 += d0*sg0*VW + vc0
v_cmp_lt_u32 s[52:53], v4, s[sgprSizeI]            // coord0 < size0
v_cmp_lt_u32 s[56:57], v1, s[sgprSizeJ]            // coord1 < size1
s_and_b64 s[56:57], s[52:53], s[56:57]             // in0 && in1
_v_add_lshl_u32 v15, v2, v4, 0x2                   // scaleToBpe: accumulate d0 lower and *= bpe into Cin addr
v_cndmask_b32 v15, -1, v15, s[56:57]               // LDC clip if OOB. offset
_buffer_load_b32 v16, v15, s[sgprSrdC:sgprSrdC+3], 0, offen offset:0 // load C for beta calc
_v_add_lshl_u32 v15, v3, v4, 0x2                   // scaleToBpe: accumulate d0 lower and *= bpe into Cin addr
v_cndmask_b32 v15, -1, v15, s[56:57]               // LDD clip if OOB. offset
	;; [unrolled: 10-line block ×12, first 2 shown]
/* (d1,vc1,d0,vc0)=(1,0,4,0) */
s_mov_b32 s52, 128                                 // coordOffset0 d0=4 vc0=0
_v_add_co_u32 v4, vcc, v0, s52                     // coord0.2: coord0 += d0*sg0*VW + vc0
v_cmp_lt_u32 s[52:53], v4, s[sgprSizeI]            // coord0 < size0
v_cmp_lt_u32 s[56:57], v1, s[sgprSizeJ]            // coord1 < size1
s_and_b64 s[56:57], s[52:53], s[56:57]             // in0 && in1
_v_add_lshl_u32 v48, v2, v4, 0x2                   // scaleToBpe: accumulate d0 lower and *= bpe into Cin addr
v_cndmask_b32 v48, -1, v48, s[56:57]               // LDC clip if OOB. offset
_buffer_load_b32 v49, v48, s[sgprSrdC:sgprSrdC+3], 0, offen offset:0 // load C for beta calc
_v_add_lshl_u32 v48, v3, v4, 0x2                   // scaleToBpe: accumulate d0 lower and *= bpe into Cin addr
v_cndmask_b32 v48, -1, v48, s[56:57]               // LDD clip if OOB. offset
/* (d1,vc1,d0,vc0)=(1,0,4,1) */
s_mov_b32 s52, 129                                 // coordOffset0 d0=4 vc0=1
_v_add_co_u32 v4, vcc, v0, s52                     // coord0.2: coord0 += d0*sg0*VW + vc0
v_cmp_lt_u32 s[52:53], v4, s[sgprSizeI]            // coord0 < size0
v_cmp_lt_u32 s[56:57], v1, s[sgprSizeJ]            // coord1 < size1
s_and_b64 s[56:57], s[52:53], s[56:57]             // in0 && in1
_v_add_lshl_u32 v51, v2, v4, 0x2                   // scaleToBpe: accumulate d0 lower and *= bpe into Cin addr
v_cndmask_b32 v51, -1, v51, s[56:57]               // LDC clip if OOB. offset
_buffer_load_b32 v52, v51, s[sgprSrdC:sgprSrdC+3], 0, offen offset:0 // load C for beta calc
_v_add_lshl_u32 v51, v3, v4, 0x2                   // scaleToBpe: accumulate d0 lower and *= bpe into Cin addr
v_cndmask_b32 v51, -1, v51, s[56:57]               // LDD clip if OOB. offset
	;; [unrolled: 11-line block ×18, first 2 shown]
/* (d1,vc1,d0,vc0)=(1,0,6,2) */
s_mov_b32 s52, 162                                 // coordOffset0 d0=6 vc0=2
_v_add_co_u32 v4, vcc, v0, s52                     // coord0.2: coord0 += d0*sg0*VW + vc0
v_cmp_lt_u32 s[52:53], v4, s[sgprSizeI]            // coord0 < size0
v_cmp_lt_u32 s[56:57], v1, s[sgprSizeJ]            // coord1 < size1
s_and_b64 s[56:57], s[52:53], s[56:57]             // in0 && in1
_v_add_lshl_u32 v102, v2, v4, 0x2                  // scaleToBpe: accumulate d0 lower and *= bpe into Cin addr
v_cndmask_b32 v102, -1, v102, s[56:57]             // LDC clip if OOB. offset
_buffer_load_b32 v103, v102, s[sgprSrdC:sgprSrdC+3], 0, offen offset:0 // load C for beta calc
_v_add_lshl_u32 v102, v3, v4, 0x2                  // scaleToBpe: accumulate d0 lower and *= bpe into Cin addr
v_cndmask_b32 v102, -1, v102, s[56:57]             // LDD clip if OOB. offset
/* (d1,vc1,d0,vc0)=(1,0,6,3) */
s_mov_b32 s52, 163                                 // coordOffset0 d0=6 vc0=3
_v_add_co_u32 v4, vcc, v0, s52                     // coord0.2: coord0 += d0*sg0*VW + vc0
v_cmp_lt_u32 s[52:53], v4, s[sgprSizeI]            // coord0 < size0
v_cmp_lt_u32 s[56:57], v1, s[sgprSizeJ]            // coord1 < size1
s_and_b64 s[56:57], s[52:53], s[56:57]             // in0 && in1
_v_add_lshl_u32 v105, v2, v4, 0x2                  // scaleToBpe: accumulate d0 lower and *= bpe into Cin addr
v_cndmask_b32 v105, -1, v105, s[56:57]             // LDC clip if OOB. offset
_buffer_load_b32 v106, v105, s[sgprSrdC:sgprSrdC+3], 0, offen offset:0 // load C for beta calc
_v_add_lshl_u32 v105, v3, v4, 0x2                  // scaleToBpe: accumulate d0 lower and *= bpe into Cin addr
v_cndmask_b32 v105, -1, v105, s[56:57]             // LDD clip if OOB. offset
	;; [unrolled: 11-line block ×14, first 2 shown]
/* (d1,vc1,d0,vc0)=(2,0,0,0) */
_v_add_co_u32 v1, vcc, v1, 64                      // coord1.1: coord1Vgpr += d1*sg1*VW + vc1

/* Fix for UseInitialStridesCD, emitAddressSetupCode */
s_mul_i32 s52, s[sgprStrideC1J], 64                // scale stride
_v_add_u32 v2, v2, s52                             // ROWINC- Move cinRowPtr to next row
s_mul_i32 s52, s[sgprStrideD1J], 64                // scale stride
_v_add_u32 v3, v3, s52                             // Move coutRowPtr to next row
v_cmp_lt_u32 s[52:53], v0, s[sgprSizeI]            // coord0 < size0
v_cmp_lt_u32 s[56:57], v1, s[sgprSizeJ]            // coord1 < size1
s_and_b64 s[56:57], s[52:53], s[56:57]             // in0 && in1
_v_add_lshl_u32 v144, v2, v0, 0x2                  // scaleToBpe: accumulate d0 lower and *= bpe into Cin addr
v_cndmask_b32 v144, -1, v144, s[56:57]             // LDC clip if OOB. offset
_buffer_load_b32 v145, v144, s[sgprSrdC:sgprSrdC+3], 0, offen offset:0 // load C for beta calc
_v_add_lshl_u32 v144, v3, v0, 0x2                  // scaleToBpe: accumulate d0 lower and *= bpe into Cin addr
v_cndmask_b32 v144, -1, v144, s[56:57]             // LDD clip if OOB. offset
/* (d1,vc1,d0,vc0)=(2,0,0,1) */
_v_add_co_u32 v4, vcc, v0, 1                       // coord0.1: coord0 += d0*sg0*VW + vc0
v_cmp_lt_u32 s[52:53], v4, s[sgprSizeI]            // coord0 < size0
v_cmp_lt_u32 s[56:57], v1, s[sgprSizeJ]            // coord1 < size1
s_and_b64 s[56:57], s[52:53], s[56:57]             // in0 && in1
_v_add_lshl_u32 v147, v2, v4, 0x2                  // scaleToBpe: accumulate d0 lower and *= bpe into Cin addr
v_cndmask_b32 v147, -1, v147, s[56:57]             // LDC clip if OOB. offset
_buffer_load_b32 v148, v147, s[sgprSrdC:sgprSrdC+3], 0, offen offset:0 // load C for beta calc
_v_add_lshl_u32 v147, v3, v4, 0x2                  // scaleToBpe: accumulate d0 lower and *= bpe into Cin addr
v_cndmask_b32 v147, -1, v147, s[56:57]             // LDD clip if OOB. offset
/* (d1,vc1,d0,vc0)=(2,0,0,2) */
_v_add_co_u32 v4, vcc, v0, 2                       // coord0.1: coord0 += d0*sg0*VW + vc0
	;; [unrolled: 10-line block ×7, first 2 shown]
v_cmp_lt_u32 s[52:53], v4, s[sgprSizeI]            // coord0 < size0
v_cmp_lt_u32 s[56:57], v1, s[sgprSizeJ]            // coord1 < size1
s_and_b64 s[56:57], s[52:53], s[56:57]             // in0 && in1
_v_add_lshl_u32 v165, v2, v4, 0x2                  // scaleToBpe: accumulate d0 lower and *= bpe into Cin addr
v_cndmask_b32 v165, -1, v165, s[56:57]             // LDC clip if OOB. offset
_buffer_load_b32 v166, v165, s[sgprSrdC:sgprSrdC+3], 0, offen offset:0 // load C for beta calc
_v_add_lshl_u32 v165, v3, v4, 0x2                  // scaleToBpe: accumulate d0 lower and *= bpe into Cin addr
v_cndmask_b32 v165, -1, v165, s[56:57]             // LDD clip if OOB. offset
/* (d1,vc1,d0,vc0)=(2,0,1,0) */
_v_add_co_u32 v4, vcc, v0, 16                      // coord0.1: coord0 += d0*sg0*VW + vc0
v_cmp_lt_u32 s[52:53], v4, s[sgprSizeI]            // coord0 < size0
v_cmp_lt_u32 s[56:57], v1, s[sgprSizeJ]            // coord1 < size1
s_and_b64 s[56:57], s[52:53], s[56:57]             // in0 && in1
_v_add_lshl_u32 v168, v2, v4, 0x2                  // scaleToBpe: accumulate d0 lower and *= bpe into Cin addr
v_cndmask_b32 v168, -1, v168, s[56:57]             // LDC clip if OOB. offset
_buffer_load_b32 v169, v168, s[sgprSrdC:sgprSrdC+3], 0, offen offset:0 // load C for beta calc
_v_add_lshl_u32 v168, v3, v4, 0x2                  // scaleToBpe: accumulate d0 lower and *= bpe into Cin addr
v_cndmask_b32 v168, -1, v168, s[56:57]             // LDD clip if OOB. offset
/* (d1,vc1,d0,vc0)=(2,0,1,1) */
_v_add_co_u32 v4, vcc, v0, 17                      // coord0.1: coord0 += d0*sg0*VW + vc0
	;; [unrolled: 10-line block ×24, first 2 shown]
v_cmp_lt_u32 s[52:53], v4, s[sgprSizeI]            // coord0 < size0
v_cmp_lt_u32 s[56:57], v1, s[sgprSizeJ]            // coord1 < size1
s_and_b64 s[56:57], s[52:53], s[56:57]             // in0 && in1
_v_add_lshl_u32 v240, v2, v4, 0x2                  // scaleToBpe: accumulate d0 lower and *= bpe into Cin addr
v_cndmask_b32 v240, -1, v240, s[56:57]             // LDC clip if OOB. offset
_buffer_load_b32 v241, v240, s[sgprSrdC:sgprSrdC+3], 0, offen offset:0 // load C for beta calc
_v_add_lshl_u32 v240, v3, v4, 0x2                  // scaleToBpe: accumulate d0 lower and *= bpe into Cin addr
v_cndmask_b32 v240, -1, v240, s[56:57]             // LDD clip if OOB. offset
/* (d1,vc1,d0,vc0)=(2,0,4,0) */
s_mov_b32 s52, 128                                 // coordOffset0 d0=4 vc0=0
_v_add_co_u32 v4, vcc, v0, s52                     // coord0.2: coord0 += d0*sg0*VW + vc0
v_cmp_lt_u32 s[52:53], v4, s[sgprSizeI]            // coord0 < size0
v_cmp_lt_u32 s[56:57], v1, s[sgprSizeJ]            // coord1 < size1
s_and_b64 s[56:57], s[52:53], s[56:57]             // in0 && in1
_v_add_lshl_u32 v243, v2, v4, 0x2                  // scaleToBpe: accumulate d0 lower and *= bpe into Cin addr
v_cndmask_b32 v243, -1, v243, s[56:57]             // LDC clip if OOB. offset
_buffer_load_b32 v244, v243, s[sgprSrdC:sgprSrdC+3], 0, offen offset:0 // load C for beta calc
_v_add_lshl_u32 v243, v3, v4, 0x2                  // scaleToBpe: accumulate d0 lower and *= bpe into Cin addr
v_cndmask_b32 v243, -1, v243, s[56:57]             // LDD clip if OOB. offset
/* (d1,vc1,d0,vc0)=(2,0,4,1) */
s_mov_b32 s52, 129                                 // coordOffset0 d0=4 vc0=1
_v_add_co_u32 v4, vcc, v0, s52                     // coord0.2: coord0 += d0*sg0*VW + vc0
	;; [unrolled: 11-line block ×4, first 2 shown]
v_cmp_lt_u32 s[52:53], v4, s[sgprSizeI]            // coord0 < size0
v_cmp_lt_u32 s[56:57], v1, s[sgprSizeJ]            // coord1 < size1
s_and_b64 s[56:57], s[52:53], s[56:57]             // in0 && in1
_v_add_lshl_u32 v252, v2, v4, 0x2                  // scaleToBpe: accumulate d0 lower and *= bpe into Cin addr
v_cndmask_b32 v252, -1, v252, s[56:57]             // LDC clip if OOB. offset
_buffer_load_b32 v253, v252, s[sgprSrdC:sgprSrdC+3], 0, offen offset:0 // load C for beta calc
_v_add_lshl_u32 v252, v3, v4, 0x2                  // scaleToBpe: accumulate d0 lower and *= bpe into Cin addr
v_cndmask_b32 v252, -1, v252, s[56:57]             // LDD clip if OOB. offset
v_accvgpr_read_b32 v[vgprValuC+8], acc73 // copy acc to vreg[82]
v_accvgpr_read_b32 v[vgprValuC+11], acc89 // copy acc to vreg[83]
v_accvgpr_read_b32 v[vgprValuC+14], acc74 // copy acc to vreg[84]
v_accvgpr_read_b32 v[vgprValuC+17], acc90 // copy acc to vreg[85]
v_accvgpr_read_b32 v[vgprValuC+20], acc75 // copy acc to vreg[86]
v_accvgpr_read_b32 v[vgprValuC+23], acc91 // copy acc to vreg[87]
v_accvgpr_read_b32 v[vgprValuC+26], acc76 // copy acc to vreg[88]
v_accvgpr_read_b32 v[vgprValuC+29], acc92 // copy acc to vreg[89]
v_accvgpr_read_b32 v[vgprValuC+32], acc77 // copy acc to vreg[90]
v_accvgpr_read_b32 v[vgprValuC+35], acc93 // copy acc to vreg[91]
v_accvgpr_read_b32 v[vgprValuC+38], acc78 // copy acc to vreg[92]
v_accvgpr_read_b32 v[vgprValuC+41], acc94 // copy acc to vreg[93]
v_accvgpr_read_b32 v[vgprValuC+44], acc79 // copy acc to vreg[94]
v_accvgpr_read_b32 v[vgprValuC+47], acc95 // copy acc to vreg[95]
v_accvgpr_read_b32 v[vgprValuC+50], acc96 // copy acc to vreg[96]
v_accvgpr_read_b32 v[vgprValuC+53], acc112 // copy acc to vreg[97]
v_accvgpr_read_b32 v[vgprValuC+56], acc97 // copy acc to vreg[98]
v_accvgpr_read_b32 v[vgprValuC+59], acc113 // copy acc to vreg[99]
v_accvgpr_read_b32 v[vgprValuC+62], acc98 // copy acc to vreg[100]
v_accvgpr_read_b32 v[vgprValuC+65], acc114 // copy acc to vreg[101]
v_accvgpr_read_b32 v[vgprValuC+68], acc99 // copy acc to vreg[102]
v_accvgpr_read_b32 v[vgprValuC+71], acc115 // copy acc to vreg[103]
v_accvgpr_read_b32 v[vgprValuC+74], acc100 // copy acc to vreg[104]
v_accvgpr_read_b32 v[vgprValuC+77], acc116 // copy acc to vreg[105]
v_accvgpr_read_b32 v[vgprValuC+80], acc101 // copy acc to vreg[106]
v_accvgpr_read_b32 v[vgprValuC+83], acc117 // copy acc to vreg[107]
v_accvgpr_read_b32 v[vgprValuC+86], acc102 // copy acc to vreg[108]
v_accvgpr_read_b32 v[vgprValuC+89], acc118 // copy acc to vreg[109]
v_accvgpr_read_b32 v[vgprValuC+92], acc103 // copy acc to vreg[110]
v_accvgpr_read_b32 v[vgprValuC+95], acc119 // copy acc to vreg[111]
v_accvgpr_read_b32 v[vgprValuC+98], acc104 // copy acc to vreg[112]
v_accvgpr_read_b32 v[vgprValuC+101], acc120 // copy acc to vreg[113]
v_accvgpr_read_b32 v[vgprValuC+104], acc105 // copy acc to vreg[114]
v_accvgpr_read_b32 v[vgprValuC+107], acc121 // copy acc to vreg[115]
v_accvgpr_read_b32 v[vgprValuC+110], acc106 // copy acc to vreg[116]
v_accvgpr_read_b32 v[vgprValuC+113], acc122 // copy acc to vreg[117]
v_accvgpr_read_b32 v[vgprValuC+116], acc107 // copy acc to vreg[118]
v_accvgpr_read_b32 v[vgprValuC+119], acc123 // copy acc to vreg[119]
v_accvgpr_read_b32 v[vgprValuC+122], acc108 // copy acc to vreg[120]
v_accvgpr_read_b32 v[vgprValuC+125], acc124 // copy acc to vreg[121]
v_accvgpr_read_b32 v[vgprValuC+128], acc109 // copy acc to vreg[122]
v_accvgpr_read_b32 v[vgprValuC+131], acc125 // copy acc to vreg[123]
v_accvgpr_read_b32 v[vgprValuC+134], acc110 // copy acc to vreg[124]
v_accvgpr_read_b32 v[vgprValuC+137], acc126 // copy acc to vreg[125]
v_accvgpr_read_b32 v[vgprValuC+140], acc111 // copy acc to vreg[126]
v_accvgpr_read_b32 v[vgprValuC+143], acc127 // copy acc to vreg[127]
v_accvgpr_read_b32 v[vgprValuC+146], acc128 // copy acc to vreg[128]
v_accvgpr_read_b32 v[vgprValuC+149], acc144 // copy acc to vreg[129]
v_accvgpr_read_b32 v[vgprValuC+152], acc129 // copy acc to vreg[130]
v_accvgpr_read_b32 v[vgprValuC+155], acc145 // copy acc to vreg[131]
v_accvgpr_read_b32 v[vgprValuC+158], acc130 // copy acc to vreg[132]
v_accvgpr_read_b32 v[vgprValuC+161], acc146 // copy acc to vreg[133]
v_accvgpr_read_b32 v[vgprValuC+164], acc131 // copy acc to vreg[134]
v_accvgpr_read_b32 v[vgprValuC+167], acc147 // copy acc to vreg[135]
v_accvgpr_read_b32 v[vgprValuC+170], acc132 // copy acc to vreg[136]
v_accvgpr_read_b32 v[vgprValuC+173], acc148 // copy acc to vreg[137]
v_accvgpr_read_b32 v[vgprValuC+176], acc133 // copy acc to vreg[138]
v_accvgpr_read_b32 v[vgprValuC+179], acc149 // copy acc to vreg[139]
v_accvgpr_read_b32 v[vgprValuC+182], acc134 // copy acc to vreg[140]
v_accvgpr_read_b32 v[vgprValuC+185], acc150 // copy acc to vreg[141]
v_accvgpr_read_b32 v[vgprValuC+188], acc135 // copy acc to vreg[142]
v_accvgpr_read_b32 v[vgprValuC+191], acc151 // copy acc to vreg[143]
v_accvgpr_read_b32 v[vgprValuC+194], acc136 // copy acc to vreg[144]
v_accvgpr_read_b32 v[vgprValuC+200], acc152 // copy acc to vreg[145]
v_accvgpr_read_b32 v[vgprValuC+203], acc137 // copy acc to vreg[146]
v_accvgpr_read_b32 v[vgprValuC+206], acc153 // copy acc to vreg[147]
v_accvgpr_read_b32 v[vgprValuC+209], acc138 // copy acc to vreg[148]
v_accvgpr_read_b32 v[vgprValuC+212], acc154 // copy acc to vreg[149]
v_accvgpr_read_b32 v[vgprValuC+215], acc139 // copy acc to vreg[150]
v_accvgpr_read_b32 v[vgprValuC+218], acc155 // copy acc to vreg[151]
v_accvgpr_read_b32 v[vgprValuC+221], acc140 // copy acc to vreg[152]
v_accvgpr_read_b32 v[vgprValuC+224], acc156 // copy acc to vreg[153]
v_accvgpr_read_b32 v[vgprValuC+227], acc141 // copy acc to vreg[154]
v_accvgpr_read_b32 v[vgprValuC+230], acc157 // copy acc to vreg[155]
v_accvgpr_read_b32 v[vgprValuC+233], acc142 // copy acc to vreg[156]
v_accvgpr_read_b32 v[vgprValuC+236], acc158 // copy acc to vreg[157]
v_accvgpr_read_b32 v[vgprValuC+239], acc143 // copy acc to vreg[158]
v_accvgpr_read_b32 v[vgprValuC+242], acc159 // copy acc to vreg[159]
v_accvgpr_read_b32 v[vgprValuC+245], acc160 // copy acc to vreg[160]
v_accvgpr_read_b32 v[vgprValuC+248], acc176 // copy acc to vreg[161]
v_accvgpr_read_b32 v[vgprValuC+251], acc161 // copy acc to vreg[162]
v_accvgpr_read_b32 v[vgprValuC+254], acc177 // copy acc to vreg[163]
s_nop 1                                            // 2 wait states required before reading vgpr

/* rC *= alpha batchElements=[(1, 2, 0, 2), (1, 2, 0, 3), (1, 2, 0, 4), (1, 2, 0, 5), (1, 2, 0, 6), (1, 2, 0, 7), (1, 3, 0, 0), (1, 3, 0, 1), (1, 3, 0, 2), (1, 3, 0, 3), (1, 3, 0, 4), (1, 3, 0, 5), (1, 3, 0, 6), (1, 3, 0, 7), (1, 4, 0, 0), (1, 4, 0, 1), (1, 4, 0, 2), (1, 4, 0, 3), (1, 4, 0, 4), (1, 4, 0, 5), (1, 4, 0, 6), (1, 4, 0, 7), (1, 5, 0, 0), (1, 5, 0, 1), (1, 5, 0, 2), (1, 5, 0, 3), (1, 5, 0, 4), (1, 5, 0, 5), (1, 5, 0, 6), (1, 5, 0, 7), (1, 6, 0, 0), (1, 6, 0, 1), (1, 6, 0, 2), (1, 6, 0, 3), (1, 6, 0, 4), (1, 6, 0, 5), (1, 6, 0, 6), (1, 6, 0, 7), (1, 7, 0, 0), (1, 7, 0, 1), (1, 7, 0, 2), (1, 7, 0, 3), (1, 7, 0, 4), (1, 7, 0, 5), (1, 7, 0, 6), (1, 7, 0, 7), (2, 0, 0, 0), (2, 0, 0, 1), (2, 0, 0, 2), (2, 0, 0, 3), (2, 0, 0, 4), (2, 0, 0, 5), (2, 0, 0, 6), (2, 0, 0, 7), (2, 1, 0, 0), (2, 1, 0, 1), (2, 1, 0, 2), (2, 1, 0, 3), (2, 1, 0, 4), (2, 1, 0, 5), (2, 1, 0, 6), (2, 1, 0, 7), (2, 2, 0, 0), (2, 2, 0, 1), (2, 2, 0, 2), (2, 2, 0, 3), (2, 2, 0, 4), (2, 2, 0, 5), (2, 2, 0, 6), (2, 2, 0, 7), (2, 3, 0, 0), (2, 3, 0, 1), (2, 3, 0, 2), (2, 3, 0, 3), (2, 3, 0, 4), (2, 3, 0, 5), (2, 3, 0, 6), (2, 3, 0, 7), (2, 4, 0, 0), (2, 4, 0, 1), (2, 4, 0, 2), (2, 4, 0, 3)] */
v_mul_f32 v[vgprValuC+8], s[sgprAlpha], v[vgprValuC+8] // *= alpha
v_mul_f32 v[vgprValuC+11], s[sgprAlpha], v[vgprValuC+11] // *= alpha
v_mul_f32 v[vgprValuC+14], s[sgprAlpha], v[vgprValuC+14] // *= alpha
v_mul_f32 v[vgprValuC+17], s[sgprAlpha], v[vgprValuC+17] // *= alpha
v_mul_f32 v[vgprValuC+20], s[sgprAlpha], v[vgprValuC+20] // *= alpha
v_mul_f32 v[vgprValuC+23], s[sgprAlpha], v[vgprValuC+23] // *= alpha
v_mul_f32 v[vgprValuC+26], s[sgprAlpha], v[vgprValuC+26] // *= alpha
v_mul_f32 v[vgprValuC+29], s[sgprAlpha], v[vgprValuC+29] // *= alpha
v_mul_f32 v[vgprValuC+32], s[sgprAlpha], v[vgprValuC+32] // *= alpha
v_mul_f32 v[vgprValuC+35], s[sgprAlpha], v[vgprValuC+35] // *= alpha
v_mul_f32 v[vgprValuC+38], s[sgprAlpha], v[vgprValuC+38] // *= alpha
v_mul_f32 v[vgprValuC+41], s[sgprAlpha], v[vgprValuC+41] // *= alpha
v_mul_f32 v[vgprValuC+44], s[sgprAlpha], v[vgprValuC+44] // *= alpha
v_mul_f32 v[vgprValuC+47], s[sgprAlpha], v[vgprValuC+47] // *= alpha
v_mul_f32 v[vgprValuC+50], s[sgprAlpha], v[vgprValuC+50] // *= alpha
v_mul_f32 v[vgprValuC+53], s[sgprAlpha], v[vgprValuC+53] // *= alpha
v_mul_f32 v[vgprValuC+56], s[sgprAlpha], v[vgprValuC+56] // *= alpha
v_mul_f32 v[vgprValuC+59], s[sgprAlpha], v[vgprValuC+59] // *= alpha
v_mul_f32 v[vgprValuC+62], s[sgprAlpha], v[vgprValuC+62] // *= alpha
v_mul_f32 v[vgprValuC+65], s[sgprAlpha], v[vgprValuC+65] // *= alpha
v_mul_f32 v[vgprValuC+68], s[sgprAlpha], v[vgprValuC+68] // *= alpha
v_mul_f32 v[vgprValuC+71], s[sgprAlpha], v[vgprValuC+71] // *= alpha
v_mul_f32 v[vgprValuC+74], s[sgprAlpha], v[vgprValuC+74] // *= alpha
v_mul_f32 v[vgprValuC+77], s[sgprAlpha], v[vgprValuC+77] // *= alpha
v_mul_f32 v[vgprValuC+80], s[sgprAlpha], v[vgprValuC+80] // *= alpha
v_mul_f32 v[vgprValuC+83], s[sgprAlpha], v[vgprValuC+83] // *= alpha
v_mul_f32 v[vgprValuC+86], s[sgprAlpha], v[vgprValuC+86] // *= alpha
v_mul_f32 v[vgprValuC+89], s[sgprAlpha], v[vgprValuC+89] // *= alpha
v_mul_f32 v[vgprValuC+92], s[sgprAlpha], v[vgprValuC+92] // *= alpha
v_mul_f32 v[vgprValuC+95], s[sgprAlpha], v[vgprValuC+95] // *= alpha
v_mul_f32 v[vgprValuC+98], s[sgprAlpha], v[vgprValuC+98] // *= alpha
v_mul_f32 v[vgprValuC+101], s[sgprAlpha], v[vgprValuC+101] // *= alpha
v_mul_f32 v[vgprValuC+104], s[sgprAlpha], v[vgprValuC+104] // *= alpha
v_mul_f32 v[vgprValuC+107], s[sgprAlpha], v[vgprValuC+107] // *= alpha
v_mul_f32 v[vgprValuC+110], s[sgprAlpha], v[vgprValuC+110] // *= alpha
v_mul_f32 v[vgprValuC+113], s[sgprAlpha], v[vgprValuC+113] // *= alpha
v_mul_f32 v[vgprValuC+116], s[sgprAlpha], v[vgprValuC+116] // *= alpha
v_mul_f32 v[vgprValuC+119], s[sgprAlpha], v[vgprValuC+119] // *= alpha
v_mul_f32 v[vgprValuC+122], s[sgprAlpha], v[vgprValuC+122] // *= alpha
v_mul_f32 v[vgprValuC+125], s[sgprAlpha], v[vgprValuC+125] // *= alpha
v_mul_f32 v[vgprValuC+128], s[sgprAlpha], v[vgprValuC+128] // *= alpha
v_mul_f32 v[vgprValuC+131], s[sgprAlpha], v[vgprValuC+131] // *= alpha
v_mul_f32 v[vgprValuC+134], s[sgprAlpha], v[vgprValuC+134] // *= alpha
v_mul_f32 v[vgprValuC+137], s[sgprAlpha], v[vgprValuC+137] // *= alpha
v_mul_f32 v[vgprValuC+140], s[sgprAlpha], v[vgprValuC+140] // *= alpha
v_mul_f32 v[vgprValuC+143], s[sgprAlpha], v[vgprValuC+143] // *= alpha
v_mul_f32 v[vgprValuC+146], s[sgprAlpha], v[vgprValuC+146] // *= alpha
v_mul_f32 v[vgprValuC+149], s[sgprAlpha], v[vgprValuC+149] // *= alpha
v_mul_f32 v[vgprValuC+152], s[sgprAlpha], v[vgprValuC+152] // *= alpha
v_mul_f32 v[vgprValuC+155], s[sgprAlpha], v[vgprValuC+155] // *= alpha
v_mul_f32 v[vgprValuC+158], s[sgprAlpha], v[vgprValuC+158] // *= alpha
v_mul_f32 v[vgprValuC+161], s[sgprAlpha], v[vgprValuC+161] // *= alpha
v_mul_f32 v[vgprValuC+164], s[sgprAlpha], v[vgprValuC+164] // *= alpha
v_mul_f32 v[vgprValuC+167], s[sgprAlpha], v[vgprValuC+167] // *= alpha
v_mul_f32 v[vgprValuC+170], s[sgprAlpha], v[vgprValuC+170] // *= alpha
v_mul_f32 v[vgprValuC+173], s[sgprAlpha], v[vgprValuC+173] // *= alpha
v_mul_f32 v[vgprValuC+176], s[sgprAlpha], v[vgprValuC+176] // *= alpha
v_mul_f32 v[vgprValuC+179], s[sgprAlpha], v[vgprValuC+179] // *= alpha
v_mul_f32 v[vgprValuC+182], s[sgprAlpha], v[vgprValuC+182] // *= alpha
v_mul_f32 v[vgprValuC+185], s[sgprAlpha], v[vgprValuC+185] // *= alpha
v_mul_f32 v[vgprValuC+188], s[sgprAlpha], v[vgprValuC+188] // *= alpha
v_mul_f32 v[vgprValuC+191], s[sgprAlpha], v[vgprValuC+191] // *= alpha
v_mul_f32 v[vgprValuC+194], s[sgprAlpha], v[vgprValuC+194] // *= alpha
v_mul_f32 v[vgprValuC+200], s[sgprAlpha], v[vgprValuC+200] // *= alpha
v_mul_f32 v[vgprValuC+203], s[sgprAlpha], v[vgprValuC+203] // *= alpha
v_mul_f32 v[vgprValuC+206], s[sgprAlpha], v[vgprValuC+206] // *= alpha
v_mul_f32 v[vgprValuC+209], s[sgprAlpha], v[vgprValuC+209] // *= alpha
v_mul_f32 v[vgprValuC+212], s[sgprAlpha], v[vgprValuC+212] // *= alpha
v_mul_f32 v[vgprValuC+215], s[sgprAlpha], v[vgprValuC+215] // *= alpha
v_mul_f32 v[vgprValuC+218], s[sgprAlpha], v[vgprValuC+218] // *= alpha
v_mul_f32 v[vgprValuC+221], s[sgprAlpha], v[vgprValuC+221] // *= alpha
v_mul_f32 v[vgprValuC+224], s[sgprAlpha], v[vgprValuC+224] // *= alpha
v_mul_f32 v[vgprValuC+227], s[sgprAlpha], v[vgprValuC+227] // *= alpha
v_mul_f32 v[vgprValuC+230], s[sgprAlpha], v[vgprValuC+230] // *= alpha
v_mul_f32 v[vgprValuC+233], s[sgprAlpha], v[vgprValuC+233] // *= alpha
v_mul_f32 v[vgprValuC+236], s[sgprAlpha], v[vgprValuC+236] // *= alpha
v_mul_f32 v[vgprValuC+239], s[sgprAlpha], v[vgprValuC+239] // *= alpha
v_mul_f32 v[vgprValuC+242], s[sgprAlpha], v[vgprValuC+242] // *= alpha
v_mul_f32 v[vgprValuC+245], s[sgprAlpha], v[vgprValuC+245] // *= alpha
v_mul_f32 v[vgprValuC+248], s[sgprAlpha], v[vgprValuC+248] // *= alpha
v_mul_f32 v[vgprValuC+251], s[sgprAlpha], v[vgprValuC+251] // *= alpha
v_mul_f32 v[vgprValuC+254], s[sgprAlpha], v[vgprValuC+254] // *= alpha
s_waitcnt vmcnt(0)                                 // wait C

/* apply mask, calc new C and issue writes */
_v_mac_f32 v[vgprValuC+8], v7, s[sgprBeta]         // finalSum = sum*alpha + C*beta
_buffer_store_b32 v8, v6, s[sgprSrdD:sgprSrdD+3], 0, offen, offset:0 // store D
_v_mac_f32 v[vgprValuC+11], v10, s[sgprBeta]       // finalSum = sum*alpha + C*beta
_buffer_store_b32 v11, v9, s[sgprSrdD:sgprSrdD+3], 0, offen, offset:0 // store D
_v_mac_f32 v[vgprValuC+14], v13, s[sgprBeta]       // finalSum = sum*alpha + C*beta
	;; [unrolled: 2-line block ×30, first 2 shown]
_buffer_store_b32 v98, v96, s[sgprSrdD:sgprSrdD+3], 0, offen, offset:0 // store D
_v_mac_f32 v[vgprValuC+101], v100, s[sgprBeta]     // finalSum = sum*alpha + C*beta
_buffer_store_b32 v101, v99, s[sgprSrdD:sgprSrdD+3], 0, offen, offset:0 // store D
_v_mac_f32 v[vgprValuC+104], v103, s[sgprBeta]     // finalSum = sum*alpha + C*beta
	;; [unrolled: 2-line block ×51, first 2 shown]
_buffer_store_b32 v254, v252, s[sgprSrdD:sgprSrdD+3], 0, offen, offset:0 // store D
s_nop 0                                            // 1 wait state required when next inst writes vgprs held by previous dwordx4 store inst
/* optSingleColVgpr=0 optSharedColVgpr=0 optSGPRUsage=BufferLoad_Edge_Mask optSrdIncForRow=0 */

/******************************************/
/* Global Write Alpha Beta Edge Batch #2 (d1,d0,vc1,vc0) = */
/*    (2,4,0,4:vw1); (2,4,0,5:vw1); (2,4,0,6:vw1); (2,4,0,7:vw1); (2,5,0,0:vw1); (2,5,0,1:vw1); (2,5,0,2:vw1); (2,5,0,3:vw1); (2,5,0,4:vw1); (2,5,0,5:vw1); (2,5,0,6:vw1); (2,5,0,7:vw1); (2,6,0,0:vw1); (2,6,0,1:vw1); (2,6,0,2:vw1); (2,6,0,3:vw1); (2,6,0,4:vw1); (2,6,0,5:vw1); (2,6,0,6:vw1); (2,6,0,7:vw1); (2,7,0,0:vw1); (2,7,0,1:vw1); (2,7,0,2:vw1); (2,7,0,3:vw1); (2,7,0,4:vw1); (2,7,0,5:vw1); (2,7,0,6:vw1); (2,7,0,7:vw1); (3,0,0,0:vw1); (3,0,0,1:vw1); (3,0,0,2:vw1); (3,0,0,3:vw1); (3,0,0,4:vw1); (3,0,0,5:vw1); (3,0,0,6:vw1); (3,0,0,7:vw1); (3,1,0,0:vw1); (3,1,0,1:vw1); (3,1,0,2:vw1); (3,1,0,3:vw1); (3,1,0,4:vw1); (3,1,0,5:vw1); (3,1,0,6:vw1); (3,1,0,7:vw1); (3,2,0,0:vw1); (3,2,0,1:vw1); (3,2,0,2:vw1); (3,2,0,3:vw1); (3,2,0,4:vw1); (3,2,0,5:vw1); (3,2,0,6:vw1); (3,2,0,7:vw1); (3,3,0,0:vw1); (3,3,0,1:vw1); (3,3,0,2:vw1); (3,3,0,3:vw1); (3,3,0,4:vw1); (3,3,0,5:vw1); (3,3,0,6:vw1); (3,3,0,7:vw1); (3,4,0,0:vw1); (3,4,0,1:vw1); (3,4,0,2:vw1); (3,4,0,3:vw1); (3,4,0,4:vw1); (3,4,0,5:vw1); (3,4,0,6:vw1); (3,4,0,7:vw1); (3,5,0,0:vw1); (3,5,0,1:vw1); (3,5,0,2:vw1); (3,5,0,3:vw1); (3,5,0,4:vw1); (3,5,0,5:vw1); (3,5,0,6:vw1); (3,5,0,7:vw1); (3,6,0,0:vw1); (3,6,0,1:vw1); (3,6,0,2:vw1); (3,6,0,3:vw1); (3,6,0,4:vw1); (3,6,0,5:vw1) */
/******************************************/

/* calc coords, apply mask, and issue loads (if necessary) */
/* (d1,vc1,d0,vc0)=(2,0,4,4) */
s_mov_b32 s52, 132                                 // coordOffset0 d0=4 vc0=4
_v_add_co_u32 v4, vcc, v0, s52                     // coord0.2: coord0 += d0*sg0*VW + vc0
v_cmp_lt_u32 s[52:53], v4, s[sgprSizeI]            // coord0 < size0
v_cmp_lt_u32 s[56:57], v1, s[sgprSizeJ]            // coord1 < size1
s_and_b64 s[56:57], s[52:53], s[56:57]             // in0 && in1
_v_add_lshl_u32 v6, v2, v4, 0x2                    // scaleToBpe: accumulate d0 lower and *= bpe into Cin addr
v_cndmask_b32 v6, -1, v6, s[56:57]                 // LDC clip if OOB. offset
_buffer_load_b32 v7, v6, s[sgprSrdC:sgprSrdC+3], 0, offen offset:0 // load C for beta calc
_v_add_lshl_u32 v6, v3, v4, 0x2                    // scaleToBpe: accumulate d0 lower and *= bpe into Cin addr
v_cndmask_b32 v6, -1, v6, s[56:57]                 // LDD clip if OOB. offset
/* (d1,vc1,d0,vc0)=(2,0,4,5) */
s_mov_b32 s52, 133                                 // coordOffset0 d0=4 vc0=5
_v_add_co_u32 v4, vcc, v0, s52                     // coord0.2: coord0 += d0*sg0*VW + vc0
v_cmp_lt_u32 s[52:53], v4, s[sgprSizeI]            // coord0 < size0
v_cmp_lt_u32 s[56:57], v1, s[sgprSizeJ]            // coord1 < size1
s_and_b64 s[56:57], s[52:53], s[56:57]             // in0 && in1
_v_add_lshl_u32 v9, v2, v4, 0x2                    // scaleToBpe: accumulate d0 lower and *= bpe into Cin addr
v_cndmask_b32 v9, -1, v9, s[56:57]                 // LDC clip if OOB. offset
_buffer_load_b32 v10, v9, s[sgprSrdC:sgprSrdC+3], 0, offen offset:0 // load C for beta calc
_v_add_lshl_u32 v9, v3, v4, 0x2                    // scaleToBpe: accumulate d0 lower and *= bpe into Cin addr
v_cndmask_b32 v9, -1, v9, s[56:57]                 // LDD clip if OOB. offset
/* (d1,vc1,d0,vc0)=(2,0,4,6) */
s_mov_b32 s52, 134                                 // coordOffset0 d0=4 vc0=6
_v_add_co_u32 v4, vcc, v0, s52                     // coord0.2: coord0 += d0*sg0*VW + vc0
v_cmp_lt_u32 s[52:53], v4, s[sgprSizeI]            // coord0 < size0
v_cmp_lt_u32 s[56:57], v1, s[sgprSizeJ]            // coord1 < size1
s_and_b64 s[56:57], s[52:53], s[56:57]             // in0 && in1
_v_add_lshl_u32 v12, v2, v4, 0x2                   // scaleToBpe: accumulate d0 lower and *= bpe into Cin addr
v_cndmask_b32 v12, -1, v12, s[56:57]               // LDC clip if OOB. offset
_buffer_load_b32 v13, v12, s[sgprSrdC:sgprSrdC+3], 0, offen offset:0 // load C for beta calc
_v_add_lshl_u32 v12, v3, v4, 0x2                   // scaleToBpe: accumulate d0 lower and *= bpe into Cin addr
v_cndmask_b32 v12, -1, v12, s[56:57]               // LDD clip if OOB. offset
/* (d1,vc1,d0,vc0)=(2,0,4,7) */
s_mov_b32 s52, 135                                 // coordOffset0 d0=4 vc0=7
_v_add_co_u32 v4, vcc, v0, s52                     // coord0.2: coord0 += d0*sg0*VW + vc0
v_cmp_lt_u32 s[52:53], v4, s[sgprSizeI]            // coord0 < size0
v_cmp_lt_u32 s[56:57], v1, s[sgprSizeJ]            // coord1 < size1
s_and_b64 s[56:57], s[52:53], s[56:57]             // in0 && in1
_v_add_lshl_u32 v15, v2, v4, 0x2                   // scaleToBpe: accumulate d0 lower and *= bpe into Cin addr
v_cndmask_b32 v15, -1, v15, s[56:57]               // LDC clip if OOB. offset
_buffer_load_b32 v16, v15, s[sgprSrdC:sgprSrdC+3], 0, offen offset:0 // load C for beta calc
_v_add_lshl_u32 v15, v3, v4, 0x2                   // scaleToBpe: accumulate d0 lower and *= bpe into Cin addr
v_cndmask_b32 v15, -1, v15, s[56:57]               // LDD clip if OOB. offset
	;; [unrolled: 11-line block ×26, first 2 shown]
/* (d1,vc1,d0,vc0)=(3,0,0,0) */
_v_add_co_u32 v1, vcc, v1, 64                      // coord1.1: coord1Vgpr += d1*sg1*VW + vc1

/* Fix for UseInitialStridesCD, emitAddressSetupCode */
s_mul_i32 s52, s[sgprStrideC1J], 64                // scale stride
_v_add_u32 v2, v2, s52                             // ROWINC- Move cinRowPtr to next row
s_mul_i32 s52, s[sgprStrideD1J], 64                // scale stride
_v_add_u32 v3, v3, s52                             // Move coutRowPtr to next row
v_cmp_lt_u32 s[52:53], v0, s[sgprSizeI]            // coord0 < size0
v_cmp_lt_u32 s[56:57], v1, s[sgprSizeJ]            // coord1 < size1
s_and_b64 s[56:57], s[52:53], s[56:57]             // in0 && in1
_v_add_lshl_u32 v90, v2, v0, 0x2                   // scaleToBpe: accumulate d0 lower and *= bpe into Cin addr
v_cndmask_b32 v90, -1, v90, s[56:57]               // LDC clip if OOB. offset
_buffer_load_b32 v91, v90, s[sgprSrdC:sgprSrdC+3], 0, offen offset:0 // load C for beta calc
_v_add_lshl_u32 v90, v3, v0, 0x2                   // scaleToBpe: accumulate d0 lower and *= bpe into Cin addr
v_cndmask_b32 v90, -1, v90, s[56:57]               // LDD clip if OOB. offset
/* (d1,vc1,d0,vc0)=(3,0,0,1) */
_v_add_co_u32 v4, vcc, v0, 1                       // coord0.1: coord0 += d0*sg0*VW + vc0
v_cmp_lt_u32 s[52:53], v4, s[sgprSizeI]            // coord0 < size0
v_cmp_lt_u32 s[56:57], v1, s[sgprSizeJ]            // coord1 < size1
s_and_b64 s[56:57], s[52:53], s[56:57]             // in0 && in1
_v_add_lshl_u32 v93, v2, v4, 0x2                   // scaleToBpe: accumulate d0 lower and *= bpe into Cin addr
v_cndmask_b32 v93, -1, v93, s[56:57]               // LDC clip if OOB. offset
_buffer_load_b32 v94, v93, s[sgprSrdC:sgprSrdC+3], 0, offen offset:0 // load C for beta calc
_v_add_lshl_u32 v93, v3, v4, 0x2                   // scaleToBpe: accumulate d0 lower and *= bpe into Cin addr
v_cndmask_b32 v93, -1, v93, s[56:57]               // LDD clip if OOB. offset
/* (d1,vc1,d0,vc0)=(3,0,0,2) */
_v_add_co_u32 v4, vcc, v0, 2                       // coord0.1: coord0 += d0*sg0*VW + vc0
	;; [unrolled: 10-line block ×4, first 2 shown]
v_cmp_lt_u32 s[52:53], v4, s[sgprSizeI]            // coord0 < size0
v_cmp_lt_u32 s[56:57], v1, s[sgprSizeJ]            // coord1 < size1
s_and_b64 s[56:57], s[52:53], s[56:57]             // in0 && in1
_v_add_lshl_u32 v102, v2, v4, 0x2                  // scaleToBpe: accumulate d0 lower and *= bpe into Cin addr
v_cndmask_b32 v102, -1, v102, s[56:57]             // LDC clip if OOB. offset
_buffer_load_b32 v103, v102, s[sgprSrdC:sgprSrdC+3], 0, offen offset:0 // load C for beta calc
_v_add_lshl_u32 v102, v3, v4, 0x2                  // scaleToBpe: accumulate d0 lower and *= bpe into Cin addr
v_cndmask_b32 v102, -1, v102, s[56:57]             // LDD clip if OOB. offset
/* (d1,vc1,d0,vc0)=(3,0,0,5) */
_v_add_co_u32 v4, vcc, v0, 5                       // coord0.1: coord0 += d0*sg0*VW + vc0
v_cmp_lt_u32 s[52:53], v4, s[sgprSizeI]            // coord0 < size0
v_cmp_lt_u32 s[56:57], v1, s[sgprSizeJ]            // coord1 < size1
s_and_b64 s[56:57], s[52:53], s[56:57]             // in0 && in1
_v_add_lshl_u32 v105, v2, v4, 0x2                  // scaleToBpe: accumulate d0 lower and *= bpe into Cin addr
v_cndmask_b32 v105, -1, v105, s[56:57]             // LDC clip if OOB. offset
_buffer_load_b32 v106, v105, s[sgprSrdC:sgprSrdC+3], 0, offen offset:0 // load C for beta calc
_v_add_lshl_u32 v105, v3, v4, 0x2                  // scaleToBpe: accumulate d0 lower and *= bpe into Cin addr
v_cndmask_b32 v105, -1, v105, s[56:57]             // LDD clip if OOB. offset
/* (d1,vc1,d0,vc0)=(3,0,0,6) */
_v_add_co_u32 v4, vcc, v0, 6                       // coord0.1: coord0 += d0*sg0*VW + vc0
	;; [unrolled: 10-line block ×3, first 2 shown]
v_cmp_lt_u32 s[52:53], v4, s[sgprSizeI]            // coord0 < size0
v_cmp_lt_u32 s[56:57], v1, s[sgprSizeJ]            // coord1 < size1
s_and_b64 s[56:57], s[52:53], s[56:57]             // in0 && in1
_v_add_lshl_u32 v111, v2, v4, 0x2                  // scaleToBpe: accumulate d0 lower and *= bpe into Cin addr
v_cndmask_b32 v111, -1, v111, s[56:57]             // LDC clip if OOB. offset
_buffer_load_b32 v112, v111, s[sgprSrdC:sgprSrdC+3], 0, offen offset:0 // load C for beta calc
_v_add_lshl_u32 v111, v3, v4, 0x2                  // scaleToBpe: accumulate d0 lower and *= bpe into Cin addr
v_cndmask_b32 v111, -1, v111, s[56:57]             // LDD clip if OOB. offset
/* (d1,vc1,d0,vc0)=(3,0,1,0) */
_v_add_co_u32 v4, vcc, v0, 16                      // coord0.1: coord0 += d0*sg0*VW + vc0
v_cmp_lt_u32 s[52:53], v4, s[sgprSizeI]            // coord0 < size0
v_cmp_lt_u32 s[56:57], v1, s[sgprSizeJ]            // coord1 < size1
s_and_b64 s[56:57], s[52:53], s[56:57]             // in0 && in1
_v_add_lshl_u32 v114, v2, v4, 0x2                  // scaleToBpe: accumulate d0 lower and *= bpe into Cin addr
v_cndmask_b32 v114, -1, v114, s[56:57]             // LDC clip if OOB. offset
_buffer_load_b32 v115, v114, s[sgprSrdC:sgprSrdC+3], 0, offen offset:0 // load C for beta calc
_v_add_lshl_u32 v114, v3, v4, 0x2                  // scaleToBpe: accumulate d0 lower and *= bpe into Cin addr
v_cndmask_b32 v114, -1, v114, s[56:57]             // LDD clip if OOB. offset
/* (d1,vc1,d0,vc0)=(3,0,1,1) */
_v_add_co_u32 v4, vcc, v0, 17                      // coord0.1: coord0 += d0*sg0*VW + vc0
	;; [unrolled: 10-line block ×24, first 2 shown]
v_cmp_lt_u32 s[52:53], v4, s[sgprSizeI]            // coord0 < size0
v_cmp_lt_u32 s[56:57], v1, s[sgprSizeJ]            // coord1 < size1
s_and_b64 s[56:57], s[52:53], s[56:57]             // in0 && in1
_v_add_lshl_u32 v183, v2, v4, 0x2                  // scaleToBpe: accumulate d0 lower and *= bpe into Cin addr
v_cndmask_b32 v183, -1, v183, s[56:57]             // LDC clip if OOB. offset
_buffer_load_b32 v184, v183, s[sgprSrdC:sgprSrdC+3], 0, offen offset:0 // load C for beta calc
_v_add_lshl_u32 v183, v3, v4, 0x2                  // scaleToBpe: accumulate d0 lower and *= bpe into Cin addr
v_cndmask_b32 v183, -1, v183, s[56:57]             // LDD clip if OOB. offset
/* (d1,vc1,d0,vc0)=(3,0,4,0) */
s_mov_b32 s52, 128                                 // coordOffset0 d0=4 vc0=0
_v_add_co_u32 v4, vcc, v0, s52                     // coord0.2: coord0 += d0*sg0*VW + vc0
v_cmp_lt_u32 s[52:53], v4, s[sgprSizeI]            // coord0 < size0
v_cmp_lt_u32 s[56:57], v1, s[sgprSizeJ]            // coord1 < size1
s_and_b64 s[56:57], s[52:53], s[56:57]             // in0 && in1
_v_add_lshl_u32 v186, v2, v4, 0x2                  // scaleToBpe: accumulate d0 lower and *= bpe into Cin addr
v_cndmask_b32 v186, -1, v186, s[56:57]             // LDC clip if OOB. offset
_buffer_load_b32 v187, v186, s[sgprSrdC:sgprSrdC+3], 0, offen offset:0 // load C for beta calc
_v_add_lshl_u32 v186, v3, v4, 0x2                  // scaleToBpe: accumulate d0 lower and *= bpe into Cin addr
v_cndmask_b32 v186, -1, v186, s[56:57]             // LDD clip if OOB. offset
/* (d1,vc1,d0,vc0)=(3,0,4,1) */
s_mov_b32 s52, 129                                 // coordOffset0 d0=4 vc0=1
_v_add_co_u32 v4, vcc, v0, s52                     // coord0.2: coord0 += d0*sg0*VW + vc0
	;; [unrolled: 11-line block ×22, first 2 shown]
v_cmp_lt_u32 s[52:53], v4, s[sgprSizeI]            // coord0 < size0
v_cmp_lt_u32 s[56:57], v1, s[sgprSizeJ]            // coord1 < size1
s_and_b64 s[56:57], s[52:53], s[56:57]             // in0 && in1
_v_add_lshl_u32 v252, v2, v4, 0x2                  // scaleToBpe: accumulate d0 lower and *= bpe into Cin addr
v_cndmask_b32 v252, -1, v252, s[56:57]             // LDC clip if OOB. offset
_buffer_load_b32 v253, v252, s[sgprSrdC:sgprSrdC+3], 0, offen offset:0 // load C for beta calc
_v_add_lshl_u32 v252, v3, v4, 0x2                  // scaleToBpe: accumulate d0 lower and *= bpe into Cin addr
v_cndmask_b32 v252, -1, v252, s[56:57]             // LDD clip if OOB. offset
v_accvgpr_read_b32 v[vgprValuC+8], acc162 // copy acc to vreg[164]
v_accvgpr_read_b32 v[vgprValuC+11], acc178 // copy acc to vreg[165]
v_accvgpr_read_b32 v[vgprValuC+14], acc163 // copy acc to vreg[166]
v_accvgpr_read_b32 v[vgprValuC+17], acc179 // copy acc to vreg[167]
v_accvgpr_read_b32 v[vgprValuC+20], acc164 // copy acc to vreg[168]
v_accvgpr_read_b32 v[vgprValuC+23], acc180 // copy acc to vreg[169]
v_accvgpr_read_b32 v[vgprValuC+26], acc165 // copy acc to vreg[170]
v_accvgpr_read_b32 v[vgprValuC+29], acc181 // copy acc to vreg[171]
v_accvgpr_read_b32 v[vgprValuC+32], acc166 // copy acc to vreg[172]
v_accvgpr_read_b32 v[vgprValuC+35], acc182 // copy acc to vreg[173]
v_accvgpr_read_b32 v[vgprValuC+38], acc167 // copy acc to vreg[174]
v_accvgpr_read_b32 v[vgprValuC+41], acc183 // copy acc to vreg[175]
v_accvgpr_read_b32 v[vgprValuC+44], acc168 // copy acc to vreg[176]
v_accvgpr_read_b32 v[vgprValuC+47], acc184 // copy acc to vreg[177]
v_accvgpr_read_b32 v[vgprValuC+50], acc169 // copy acc to vreg[178]
v_accvgpr_read_b32 v[vgprValuC+53], acc185 // copy acc to vreg[179]
v_accvgpr_read_b32 v[vgprValuC+56], acc170 // copy acc to vreg[180]
v_accvgpr_read_b32 v[vgprValuC+59], acc186 // copy acc to vreg[181]
v_accvgpr_read_b32 v[vgprValuC+62], acc171 // copy acc to vreg[182]
v_accvgpr_read_b32 v[vgprValuC+65], acc187 // copy acc to vreg[183]
v_accvgpr_read_b32 v[vgprValuC+68], acc172 // copy acc to vreg[184]
v_accvgpr_read_b32 v[vgprValuC+71], acc188 // copy acc to vreg[185]
v_accvgpr_read_b32 v[vgprValuC+74], acc173 // copy acc to vreg[186]
v_accvgpr_read_b32 v[vgprValuC+77], acc189 // copy acc to vreg[187]
v_accvgpr_read_b32 v[vgprValuC+80], acc174 // copy acc to vreg[188]
v_accvgpr_read_b32 v[vgprValuC+83], acc190 // copy acc to vreg[189]
v_accvgpr_read_b32 v[vgprValuC+86], acc175 // copy acc to vreg[190]
v_accvgpr_read_b32 v[vgprValuC+89], acc191 // copy acc to vreg[191]
v_accvgpr_read_b32 v[vgprValuC+92], acc192 // copy acc to vreg[192]
v_accvgpr_read_b32 v[vgprValuC+95], acc208 // copy acc to vreg[193]
v_accvgpr_read_b32 v[vgprValuC+98], acc193 // copy acc to vreg[194]
v_accvgpr_read_b32 v[vgprValuC+101], acc209 // copy acc to vreg[195]
v_accvgpr_read_b32 v[vgprValuC+104], acc194 // copy acc to vreg[196]
v_accvgpr_read_b32 v[vgprValuC+107], acc210 // copy acc to vreg[197]
v_accvgpr_read_b32 v[vgprValuC+110], acc195 // copy acc to vreg[198]
v_accvgpr_read_b32 v[vgprValuC+113], acc211 // copy acc to vreg[199]
v_accvgpr_read_b32 v[vgprValuC+116], acc196 // copy acc to vreg[200]
v_accvgpr_read_b32 v[vgprValuC+119], acc212 // copy acc to vreg[201]
v_accvgpr_read_b32 v[vgprValuC+122], acc197 // copy acc to vreg[202]
v_accvgpr_read_b32 v[vgprValuC+125], acc213 // copy acc to vreg[203]
v_accvgpr_read_b32 v[vgprValuC+128], acc198 // copy acc to vreg[204]
v_accvgpr_read_b32 v[vgprValuC+131], acc214 // copy acc to vreg[205]
v_accvgpr_read_b32 v[vgprValuC+134], acc199 // copy acc to vreg[206]
v_accvgpr_read_b32 v[vgprValuC+137], acc215 // copy acc to vreg[207]
v_accvgpr_read_b32 v[vgprValuC+140], acc200 // copy acc to vreg[208]
v_accvgpr_read_b32 v[vgprValuC+143], acc216 // copy acc to vreg[209]
v_accvgpr_read_b32 v[vgprValuC+146], acc201 // copy acc to vreg[210]
v_accvgpr_read_b32 v[vgprValuC+149], acc217 // copy acc to vreg[211]
v_accvgpr_read_b32 v[vgprValuC+152], acc202 // copy acc to vreg[212]
v_accvgpr_read_b32 v[vgprValuC+155], acc218 // copy acc to vreg[213]
v_accvgpr_read_b32 v[vgprValuC+158], acc203 // copy acc to vreg[214]
v_accvgpr_read_b32 v[vgprValuC+161], acc219 // copy acc to vreg[215]
v_accvgpr_read_b32 v[vgprValuC+164], acc204 // copy acc to vreg[216]
v_accvgpr_read_b32 v[vgprValuC+167], acc220 // copy acc to vreg[217]
v_accvgpr_read_b32 v[vgprValuC+170], acc205 // copy acc to vreg[218]
v_accvgpr_read_b32 v[vgprValuC+173], acc221 // copy acc to vreg[219]
v_accvgpr_read_b32 v[vgprValuC+176], acc206 // copy acc to vreg[220]
v_accvgpr_read_b32 v[vgprValuC+179], acc222 // copy acc to vreg[221]
v_accvgpr_read_b32 v[vgprValuC+182], acc207 // copy acc to vreg[222]
v_accvgpr_read_b32 v[vgprValuC+185], acc223 // copy acc to vreg[223]
v_accvgpr_read_b32 v[vgprValuC+188], acc224 // copy acc to vreg[224]
v_accvgpr_read_b32 v[vgprValuC+191], acc240 // copy acc to vreg[225]
v_accvgpr_read_b32 v[vgprValuC+194], acc225 // copy acc to vreg[226]
v_accvgpr_read_b32 v[vgprValuC+200], acc241 // copy acc to vreg[227]
v_accvgpr_read_b32 v[vgprValuC+203], acc226 // copy acc to vreg[228]
v_accvgpr_read_b32 v[vgprValuC+206], acc242 // copy acc to vreg[229]
v_accvgpr_read_b32 v[vgprValuC+209], acc227 // copy acc to vreg[230]
v_accvgpr_read_b32 v[vgprValuC+212], acc243 // copy acc to vreg[231]
v_accvgpr_read_b32 v[vgprValuC+215], acc228 // copy acc to vreg[232]
v_accvgpr_read_b32 v[vgprValuC+218], acc244 // copy acc to vreg[233]
v_accvgpr_read_b32 v[vgprValuC+221], acc229 // copy acc to vreg[234]
v_accvgpr_read_b32 v[vgprValuC+224], acc245 // copy acc to vreg[235]
v_accvgpr_read_b32 v[vgprValuC+227], acc230 // copy acc to vreg[236]
v_accvgpr_read_b32 v[vgprValuC+230], acc246 // copy acc to vreg[237]
v_accvgpr_read_b32 v[vgprValuC+233], acc231 // copy acc to vreg[238]
v_accvgpr_read_b32 v[vgprValuC+236], acc247 // copy acc to vreg[239]
v_accvgpr_read_b32 v[vgprValuC+239], acc232 // copy acc to vreg[240]
v_accvgpr_read_b32 v[vgprValuC+242], acc248 // copy acc to vreg[241]
v_accvgpr_read_b32 v[vgprValuC+245], acc233 // copy acc to vreg[242]
v_accvgpr_read_b32 v[vgprValuC+248], acc249 // copy acc to vreg[243]
v_accvgpr_read_b32 v[vgprValuC+251], acc234 // copy acc to vreg[244]
v_accvgpr_read_b32 v[vgprValuC+254], acc250 // copy acc to vreg[245]
s_nop 1                                            // 2 wait states required before reading vgpr

/* rC *= alpha batchElements=[(2, 4, 0, 4), (2, 4, 0, 5), (2, 4, 0, 6), (2, 4, 0, 7), (2, 5, 0, 0), (2, 5, 0, 1), (2, 5, 0, 2), (2, 5, 0, 3), (2, 5, 0, 4), (2, 5, 0, 5), (2, 5, 0, 6), (2, 5, 0, 7), (2, 6, 0, 0), (2, 6, 0, 1), (2, 6, 0, 2), (2, 6, 0, 3), (2, 6, 0, 4), (2, 6, 0, 5), (2, 6, 0, 6), (2, 6, 0, 7), (2, 7, 0, 0), (2, 7, 0, 1), (2, 7, 0, 2), (2, 7, 0, 3), (2, 7, 0, 4), (2, 7, 0, 5), (2, 7, 0, 6), (2, 7, 0, 7), (3, 0, 0, 0), (3, 0, 0, 1), (3, 0, 0, 2), (3, 0, 0, 3), (3, 0, 0, 4), (3, 0, 0, 5), (3, 0, 0, 6), (3, 0, 0, 7), (3, 1, 0, 0), (3, 1, 0, 1), (3, 1, 0, 2), (3, 1, 0, 3), (3, 1, 0, 4), (3, 1, 0, 5), (3, 1, 0, 6), (3, 1, 0, 7), (3, 2, 0, 0), (3, 2, 0, 1), (3, 2, 0, 2), (3, 2, 0, 3), (3, 2, 0, 4), (3, 2, 0, 5), (3, 2, 0, 6), (3, 2, 0, 7), (3, 3, 0, 0), (3, 3, 0, 1), (3, 3, 0, 2), (3, 3, 0, 3), (3, 3, 0, 4), (3, 3, 0, 5), (3, 3, 0, 6), (3, 3, 0, 7), (3, 4, 0, 0), (3, 4, 0, 1), (3, 4, 0, 2), (3, 4, 0, 3), (3, 4, 0, 4), (3, 4, 0, 5), (3, 4, 0, 6), (3, 4, 0, 7), (3, 5, 0, 0), (3, 5, 0, 1), (3, 5, 0, 2), (3, 5, 0, 3), (3, 5, 0, 4), (3, 5, 0, 5), (3, 5, 0, 6), (3, 5, 0, 7), (3, 6, 0, 0), (3, 6, 0, 1), (3, 6, 0, 2), (3, 6, 0, 3), (3, 6, 0, 4), (3, 6, 0, 5)] */
v_mul_f32 v[vgprValuC+8], s[sgprAlpha], v[vgprValuC+8] // *= alpha
v_mul_f32 v[vgprValuC+11], s[sgprAlpha], v[vgprValuC+11] // *= alpha
	;; [unrolled: 1-line block ×82, first 2 shown]
s_waitcnt vmcnt(0)                                 // wait C

/* apply mask, calc new C and issue writes */
_v_mac_f32 v[vgprValuC+8], v7, s[sgprBeta]         // finalSum = sum*alpha + C*beta
_buffer_store_b32 v8, v6, s[sgprSrdD:sgprSrdD+3], 0, offen, offset:0 // store D
_v_mac_f32 v[vgprValuC+11], v10, s[sgprBeta]       // finalSum = sum*alpha + C*beta
_buffer_store_b32 v11, v9, s[sgprSrdD:sgprSrdD+3], 0, offen, offset:0 // store D
_v_mac_f32 v[vgprValuC+14], v13, s[sgprBeta]       // finalSum = sum*alpha + C*beta
	;; [unrolled: 2-line block ×30, first 2 shown]
_buffer_store_b32 v98, v96, s[sgprSrdD:sgprSrdD+3], 0, offen, offset:0 // store D
_v_mac_f32 v[vgprValuC+101], v100, s[sgprBeta]     // finalSum = sum*alpha + C*beta
_buffer_store_b32 v101, v99, s[sgprSrdD:sgprSrdD+3], 0, offen, offset:0 // store D
_v_mac_f32 v[vgprValuC+104], v103, s[sgprBeta]     // finalSum = sum*alpha + C*beta
	;; [unrolled: 2-line block ×51, first 2 shown]
_buffer_store_b32 v254, v252, s[sgprSrdD:sgprSrdD+3], 0, offen, offset:0 // store D
s_nop 0                                            // 1 wait state required when next inst writes vgprs held by previous dwordx4 store inst
/* optSingleColVgpr=0 optSharedColVgpr=0 optSGPRUsage=BufferLoad_Edge_Mask optSrdIncForRow=0 */

/******************************************/
/* Global Write Alpha Beta Edge Batch #3 (d1,d0,vc1,vc0) = */
/*    (3,6,0,6:vw1); (3,6,0,7:vw1); (3,7,0,0:vw1); (3,7,0,1:vw1); (3,7,0,2:vw1); (3,7,0,3:vw1); (3,7,0,4:vw1); (3,7,0,5:vw1); (3,7,0,6:vw1); (3,7,0,7:vw1) */
/******************************************/

/* calc coords, apply mask, and issue loads (if necessary) */
/* (d1,vc1,d0,vc0)=(3,0,6,6) */
s_mov_b32 s52, 166                                 // coordOffset0 d0=6 vc0=6
_v_add_co_u32 v4, vcc, v0, s52                     // coord0.2: coord0 += d0*sg0*VW + vc0
v_cmp_lt_u32 s[52:53], v4, s[sgprSizeI]            // coord0 < size0
v_cmp_lt_u32 s[56:57], v1, s[sgprSizeJ]            // coord1 < size1
s_and_b64 s[56:57], s[52:53], s[56:57]             // in0 && in1
_v_add_lshl_u32 v6, v2, v4, 0x2                    // scaleToBpe: accumulate d0 lower and *= bpe into Cin addr
v_cndmask_b32 v6, -1, v6, s[56:57]                 // LDC clip if OOB. offset
_buffer_load_b32 v7, v6, s[sgprSrdC:sgprSrdC+3], 0, offen offset:0 // load C for beta calc
_v_add_lshl_u32 v6, v3, v4, 0x2                    // scaleToBpe: accumulate d0 lower and *= bpe into Cin addr
v_cndmask_b32 v6, -1, v6, s[56:57]                 // LDD clip if OOB. offset
/* (d1,vc1,d0,vc0)=(3,0,6,7) */
s_mov_b32 s52, 167                                 // coordOffset0 d0=6 vc0=7
_v_add_co_u32 v4, vcc, v0, s52                     // coord0.2: coord0 += d0*sg0*VW + vc0
v_cmp_lt_u32 s[52:53], v4, s[sgprSizeI]            // coord0 < size0
v_cmp_lt_u32 s[56:57], v1, s[sgprSizeJ]            // coord1 < size1
s_and_b64 s[56:57], s[52:53], s[56:57]             // in0 && in1
_v_add_lshl_u32 v9, v2, v4, 0x2                    // scaleToBpe: accumulate d0 lower and *= bpe into Cin addr
v_cndmask_b32 v9, -1, v9, s[56:57]                 // LDC clip if OOB. offset
_buffer_load_b32 v10, v9, s[sgprSrdC:sgprSrdC+3], 0, offen offset:0 // load C for beta calc
_v_add_lshl_u32 v9, v3, v4, 0x2                    // scaleToBpe: accumulate d0 lower and *= bpe into Cin addr
v_cndmask_b32 v9, -1, v9, s[56:57]                 // LDD clip if OOB. offset
/* (d1,vc1,d0,vc0)=(3,0,7,0) */
s_mov_b32 s52, 176                                 // coordOffset0 d0=7 vc0=0
_v_add_co_u32 v4, vcc, v0, s52                     // coord0.2: coord0 += d0*sg0*VW + vc0
v_cmp_lt_u32 s[52:53], v4, s[sgprSizeI]            // coord0 < size0
v_cmp_lt_u32 s[56:57], v1, s[sgprSizeJ]            // coord1 < size1
s_and_b64 s[56:57], s[52:53], s[56:57]             // in0 && in1
_v_add_lshl_u32 v12, v2, v4, 0x2                   // scaleToBpe: accumulate d0 lower and *= bpe into Cin addr
v_cndmask_b32 v12, -1, v12, s[56:57]               // LDC clip if OOB. offset
_buffer_load_b32 v13, v12, s[sgprSrdC:sgprSrdC+3], 0, offen offset:0 // load C for beta calc
_v_add_lshl_u32 v12, v3, v4, 0x2                   // scaleToBpe: accumulate d0 lower and *= bpe into Cin addr
v_cndmask_b32 v12, -1, v12, s[56:57]               // LDD clip if OOB. offset
/* (d1,vc1,d0,vc0)=(3,0,7,1) */
s_mov_b32 s52, 177                                 // coordOffset0 d0=7 vc0=1
_v_add_co_u32 v4, vcc, v0, s52                     // coord0.2: coord0 += d0*sg0*VW + vc0
v_cmp_lt_u32 s[52:53], v4, s[sgprSizeI]            // coord0 < size0
v_cmp_lt_u32 s[56:57], v1, s[sgprSizeJ]            // coord1 < size1
s_and_b64 s[56:57], s[52:53], s[56:57]             // in0 && in1
_v_add_lshl_u32 v15, v2, v4, 0x2                   // scaleToBpe: accumulate d0 lower and *= bpe into Cin addr
v_cndmask_b32 v15, -1, v15, s[56:57]               // LDC clip if OOB. offset
_buffer_load_b32 v16, v15, s[sgprSrdC:sgprSrdC+3], 0, offen offset:0 // load C for beta calc
_v_add_lshl_u32 v15, v3, v4, 0x2                   // scaleToBpe: accumulate d0 lower and *= bpe into Cin addr
v_cndmask_b32 v15, -1, v15, s[56:57]               // LDD clip if OOB. offset
	;; [unrolled: 11-line block ×8, first 2 shown]
v_accvgpr_read_b32 v[vgprValuC+8], acc235 // copy acc to vreg[246]
v_accvgpr_read_b32 v[vgprValuC+11], acc251 // copy acc to vreg[247]
v_accvgpr_read_b32 v[vgprValuC+14], acc236 // copy acc to vreg[248]
v_accvgpr_read_b32 v[vgprValuC+17], acc252 // copy acc to vreg[249]
v_accvgpr_read_b32 v[vgprValuC+20], acc237 // copy acc to vreg[250]
v_accvgpr_read_b32 v[vgprValuC+23], acc253 // copy acc to vreg[251]
v_accvgpr_read_b32 v[vgprValuC+26], acc238 // copy acc to vreg[252]
v_accvgpr_read_b32 v[vgprValuC+29], acc254 // copy acc to vreg[253]
v_accvgpr_read_b32 v[vgprValuC+32], acc239 // copy acc to vreg[254]
v_accvgpr_read_b32 v[vgprValuC+35], acc255 // copy acc to vreg[255]
s_nop 1                                            // 2 wait states required before reading vgpr

/* rC *= alpha batchElements=[(3, 6, 0, 6), (3, 6, 0, 7), (3, 7, 0, 0), (3, 7, 0, 1), (3, 7, 0, 2), (3, 7, 0, 3), (3, 7, 0, 4), (3, 7, 0, 5), (3, 7, 0, 6), (3, 7, 0, 7)] */
v_mul_f32 v[vgprValuC+8], s[sgprAlpha], v[vgprValuC+8] // *= alpha
v_mul_f32 v[vgprValuC+11], s[sgprAlpha], v[vgprValuC+11] // *= alpha
v_mul_f32 v[vgprValuC+14], s[sgprAlpha], v[vgprValuC+14] // *= alpha
v_mul_f32 v[vgprValuC+17], s[sgprAlpha], v[vgprValuC+17] // *= alpha
v_mul_f32 v[vgprValuC+20], s[sgprAlpha], v[vgprValuC+20] // *= alpha
v_mul_f32 v[vgprValuC+23], s[sgprAlpha], v[vgprValuC+23] // *= alpha
v_mul_f32 v[vgprValuC+26], s[sgprAlpha], v[vgprValuC+26] // *= alpha
v_mul_f32 v[vgprValuC+29], s[sgprAlpha], v[vgprValuC+29] // *= alpha
v_mul_f32 v[vgprValuC+32], s[sgprAlpha], v[vgprValuC+32] // *= alpha
v_mul_f32 v[vgprValuC+35], s[sgprAlpha], v[vgprValuC+35] // *= alpha
s_waitcnt vmcnt(0)                                 // wait C

/* apply mask, calc new C and issue writes */
_v_mac_f32 v[vgprValuC+8], v7, s[sgprBeta]         // finalSum = sum*alpha + C*beta
_buffer_store_b32 v8, v6, s[sgprSrdD:sgprSrdD+3], 0, offen, offset:0 // store D
_v_mac_f32 v[vgprValuC+11], v10, s[sgprBeta]       // finalSum = sum*alpha + C*beta
_buffer_store_b32 v11, v9, s[sgprSrdD:sgprSrdD+3], 0, offen, offset:0 // store D
_v_mac_f32 v[vgprValuC+14], v13, s[sgprBeta]       // finalSum = sum*alpha + C*beta
	;; [unrolled: 2-line block ×9, first 2 shown]
_buffer_store_b32 v35, v33, s[sgprSrdD:sgprSrdD+3], 0, offen, offset:0 // store D
s_nop 0                                            // 1 wait state required when next inst writes vgprs held by previous dwordx4 store inst
s_branch label_GW_End_44                           // jump to end
label_GW_End_44:

label_0049:  /// KernelEnd
s_endpgm                                           // Kernel End

